;; amdgpu-corpus repo=ROCm/rocFFT kind=compiled arch=gfx906 opt=O3
	.text
	.amdgcn_target "amdgcn-amd-amdhsa--gfx906"
	.amdhsa_code_object_version 6
	.protected	bluestein_single_back_len3888_dim1_half_op_CI_CI ; -- Begin function bluestein_single_back_len3888_dim1_half_op_CI_CI
	.globl	bluestein_single_back_len3888_dim1_half_op_CI_CI
	.p2align	8
	.type	bluestein_single_back_len3888_dim1_half_op_CI_CI,@function
bluestein_single_back_len3888_dim1_half_op_CI_CI: ; @bluestein_single_back_len3888_dim1_half_op_CI_CI
; %bb.0:
	s_load_dwordx4 s[0:3], s[4:5], 0x28
	v_mul_u32_u24_e32 v1, 0x195, v0
	v_lshrrev_b32_e32 v3, 17, v1
	v_add_u32_e32 v1, s6, v3
	v_mov_b32_e32 v2, 0
	s_waitcnt lgkmcnt(0)
	v_cmp_gt_u64_e32 vcc, s[0:1], v[1:2]
	s_and_saveexec_b64 s[0:1], vcc
	s_cbranch_execz .LBB0_15
; %bb.1:
	s_load_dwordx2 s[6:7], s[4:5], 0x0
	s_load_dwordx2 s[12:13], s[4:5], 0x38
	v_mul_lo_u16_e32 v2, 0x144, v3
	v_sub_u16_e32 v0, v0, v2
	s_movk_i32 s0, 0xf3
	v_cmp_gt_u16_e64 s[0:1], s0, v0
	v_lshlrev_b32_e32 v58, 2, v0
	s_and_saveexec_b64 s[8:9], s[0:1]
	s_cbranch_execz .LBB0_3
; %bb.2:
	s_load_dwordx2 s[10:11], s[4:5], 0x18
	s_waitcnt lgkmcnt(0)
	s_load_dwordx4 s[16:19], s[10:11], 0x0
	s_waitcnt lgkmcnt(0)
	v_mad_u64_u32 v[2:3], s[10:11], s18, v1, 0
	v_mad_u64_u32 v[4:5], s[10:11], s16, v0, 0
	;; [unrolled: 1-line block ×4, first 2 shown]
	v_mov_b32_e32 v3, v6
	v_lshlrev_b64 v[2:3], 2, v[2:3]
	v_mov_b32_e32 v5, v7
	v_mov_b32_e32 v8, s3
	v_lshlrev_b64 v[4:5], 2, v[4:5]
	v_add_co_u32_e32 v2, vcc, s2, v2
	v_addc_co_u32_e32 v3, vcc, v8, v3, vcc
	v_add_co_u32_e32 v2, vcc, v2, v4
	s_mul_i32 s2, s17, 0x3cc
	s_mul_hi_u32 s3, s16, 0x3cc
	v_addc_co_u32_e32 v3, vcc, v3, v5, vcc
	s_add_i32 s2, s3, s2
	s_mul_i32 s3, s16, 0x3cc
	v_mov_b32_e32 v5, s2
	v_add_co_u32_e32 v4, vcc, s3, v2
	v_addc_co_u32_e32 v5, vcc, v3, v5, vcc
	global_load_dword v6, v[2:3], off
	global_load_dword v7, v[4:5], off
	global_load_dword v8, v58, s[6:7]
	global_load_dword v9, v58, s[6:7] offset:972
	v_mov_b32_e32 v3, s2
	v_add_co_u32_e32 v2, vcc, s3, v4
	v_addc_co_u32_e32 v3, vcc, v5, v3, vcc
	global_load_dword v10, v[2:3], off
	global_load_dword v11, v58, s[6:7] offset:1944
	v_mov_b32_e32 v4, s2
	v_add_co_u32_e32 v2, vcc, s3, v2
	v_addc_co_u32_e32 v3, vcc, v3, v4, vcc
	global_load_dword v12, v[2:3], off
	global_load_dword v13, v58, s[6:7] offset:2916
	v_mov_b32_e32 v4, s7
	v_add_co_u32_e32 v15, vcc, s6, v58
	s_movk_i32 s10, 0x1000
	v_addc_co_u32_e32 v16, vcc, 0, v4, vcc
	v_add_co_u32_e32 v4, vcc, s10, v15
	v_addc_co_u32_e32 v5, vcc, 0, v16, vcc
	v_mov_b32_e32 v18, s2
	v_add_co_u32_e32 v2, vcc, s3, v2
	v_addc_co_u32_e32 v3, vcc, v3, v18, vcc
	global_load_dword v18, v[2:3], off
	global_load_dword v14, v58, s[6:7] offset:3888
	v_mov_b32_e32 v19, s2
	v_add_co_u32_e32 v2, vcc, s3, v2
	v_addc_co_u32_e32 v3, vcc, v3, v19, vcc
	global_load_dword v19, v[2:3], off
	global_load_dword v17, v[4:5], off offset:764
	v_mov_b32_e32 v20, s2
	v_add_co_u32_e32 v2, vcc, s3, v2
	v_addc_co_u32_e32 v3, vcc, v3, v20, vcc
	global_load_dword v20, v[2:3], off
	v_mov_b32_e32 v21, s2
	v_add_co_u32_e32 v2, vcc, s3, v2
	v_addc_co_u32_e32 v3, vcc, v3, v21, vcc
	s_movk_i32 s10, 0x2000
	v_mov_b32_e32 v30, s2
	s_waitcnt vmcnt(12)
	v_lshrrev_b32_e32 v22, 16, v6
	s_waitcnt vmcnt(10)
	v_mul_f16_sdwa v23, v8, v6 dst_sel:DWORD dst_unused:UNUSED_PAD src0_sel:WORD_1 src1_sel:DWORD
	v_mul_f16_sdwa v24, v8, v22 dst_sel:DWORD dst_unused:UNUSED_PAD src0_sel:WORD_1 src1_sel:DWORD
	v_fma_f16 v22, v8, v22, -v23
	v_lshrrev_b32_e32 v23, 16, v7
	s_waitcnt vmcnt(9)
	v_mul_f16_sdwa v25, v9, v7 dst_sel:DWORD dst_unused:UNUSED_PAD src0_sel:WORD_1 src1_sel:DWORD
	v_fma_f16 v6, v8, v6, v24
	v_mul_f16_sdwa v8, v9, v23 dst_sel:DWORD dst_unused:UNUSED_PAD src0_sel:WORD_1 src1_sel:DWORD
	s_waitcnt vmcnt(8)
	v_lshrrev_b32_e32 v24, 16, v10
	v_fma_f16 v23, v9, v23, -v25
	s_waitcnt vmcnt(7)
	v_mul_f16_sdwa v25, v11, v10 dst_sel:DWORD dst_unused:UNUSED_PAD src0_sel:WORD_1 src1_sel:DWORD
	v_pack_b32_f16 v6, v6, v22
	v_fma_f16 v7, v9, v7, v8
	v_mul_f16_sdwa v8, v11, v24 dst_sel:DWORD dst_unused:UNUSED_PAD src0_sel:WORD_1 src1_sel:DWORD
	s_waitcnt vmcnt(6)
	v_lshrrev_b32_e32 v22, 16, v12
	v_fma_f16 v9, v11, v24, -v25
	s_waitcnt vmcnt(5)
	v_mul_f16_sdwa v24, v13, v12 dst_sel:DWORD dst_unused:UNUSED_PAD src0_sel:WORD_1 src1_sel:DWORD
	v_pack_b32_f16 v7, v7, v23
	v_fma_f16 v8, v11, v10, v8
	v_mul_f16_sdwa v10, v13, v22 dst_sel:DWORD dst_unused:UNUSED_PAD src0_sel:WORD_1 src1_sel:DWORD
	v_fma_f16 v11, v13, v22, -v24
	ds_write2_b32 v58, v6, v7 offset1:243
	v_pack_b32_f16 v6, v8, v9
	v_fma_f16 v7, v13, v12, v10
	global_load_dword v8, v[2:3], off
	v_mov_b32_e32 v9, s2
	v_add_co_u32_e32 v2, vcc, s3, v2
	v_pack_b32_f16 v7, v7, v11
	v_addc_co_u32_e32 v3, vcc, v3, v9, vcc
	global_load_dword v9, v[4:5], off offset:1736
	global_load_dword v10, v[2:3], off
	global_load_dword v11, v[4:5], off offset:2708
	global_load_dword v12, v[4:5], off offset:3680
	v_mov_b32_e32 v4, s2
	v_add_co_u32_e32 v2, vcc, s3, v2
	v_addc_co_u32_e32 v3, vcc, v3, v4, vcc
	global_load_dword v13, v[2:3], off
	v_add_co_u32_e32 v4, vcc, s10, v15
	v_addc_co_u32_e32 v5, vcc, 0, v16, vcc
	v_add_co_u32_e32 v2, vcc, s3, v2
	v_addc_co_u32_e32 v3, vcc, v3, v21, vcc
	global_load_dword v21, v[4:5], off offset:556
	global_load_dword v22, v[2:3], off
	global_load_dword v23, v[4:5], off offset:1528
	v_mov_b32_e32 v24, s2
	v_add_co_u32_e32 v2, vcc, s3, v2
	v_addc_co_u32_e32 v3, vcc, v3, v24, vcc
	global_load_dword v24, v[2:3], off
	v_mov_b32_e32 v25, s2
	v_add_co_u32_e32 v2, vcc, s3, v2
	v_addc_co_u32_e32 v3, vcc, v3, v25, vcc
	global_load_dword v25, v[4:5], off offset:2500
	global_load_dword v26, v[2:3], off
	global_load_dword v27, v[4:5], off offset:3472
	v_mov_b32_e32 v4, s2
	v_add_co_u32_e32 v2, vcc, s3, v2
	v_addc_co_u32_e32 v3, vcc, v3, v4, vcc
	s_movk_i32 s10, 0x3000
	v_add_co_u32_e32 v4, vcc, s10, v15
	global_load_dword v28, v[2:3], off
	v_addc_co_u32_e32 v5, vcc, 0, v16, vcc
	global_load_dword v15, v[4:5], off offset:348
	v_mov_b32_e32 v16, s2
	v_add_co_u32_e32 v2, vcc, s3, v2
	v_addc_co_u32_e32 v3, vcc, v3, v16, vcc
	global_load_dword v16, v[2:3], off
	global_load_dword v29, v[4:5], off offset:1320
	v_add_co_u32_e32 v2, vcc, s3, v2
	v_addc_co_u32_e32 v3, vcc, v3, v30, vcc
	global_load_dword v30, v[2:3], off
	global_load_dword v31, v[4:5], off offset:2292
	v_add_u32_e32 v2, 0x780, v58
	ds_write2_b32 v2, v6, v7 offset0:6 offset1:249
	s_waitcnt vmcnt(23)
	v_lshrrev_b32_e32 v2, 16, v18
	s_waitcnt vmcnt(22)
	v_mul_f16_sdwa v3, v14, v2 dst_sel:DWORD dst_unused:UNUSED_PAD src0_sel:WORD_1 src1_sel:DWORD
	v_mul_f16_sdwa v4, v14, v18 dst_sel:DWORD dst_unused:UNUSED_PAD src0_sel:WORD_1 src1_sel:DWORD
	v_fma_f16 v3, v14, v18, v3
	v_fma_f16 v2, v14, v2, -v4
	v_pack_b32_f16 v2, v3, v2
	s_waitcnt vmcnt(21)
	v_lshrrev_b32_e32 v3, 16, v19
	s_waitcnt vmcnt(20)
	v_mul_f16_sdwa v4, v17, v3 dst_sel:DWORD dst_unused:UNUSED_PAD src0_sel:WORD_1 src1_sel:DWORD
	v_mul_f16_sdwa v5, v17, v19 dst_sel:DWORD dst_unused:UNUSED_PAD src0_sel:WORD_1 src1_sel:DWORD
	v_fma_f16 v4, v17, v19, v4
	v_fma_f16 v3, v17, v3, -v5
	v_pack_b32_f16 v3, v4, v3
	v_add_u32_e32 v4, 0xf00, v58
	ds_write2_b32 v4, v2, v3 offset0:12 offset1:255
	s_waitcnt vmcnt(19)
	v_lshrrev_b32_e32 v2, 16, v20
	s_waitcnt vmcnt(17)
	v_mul_f16_sdwa v3, v9, v2 dst_sel:DWORD dst_unused:UNUSED_PAD src0_sel:WORD_1 src1_sel:DWORD
	v_mul_f16_sdwa v4, v9, v20 dst_sel:DWORD dst_unused:UNUSED_PAD src0_sel:WORD_1 src1_sel:DWORD
	v_fma_f16 v3, v9, v20, v3
	v_fma_f16 v2, v9, v2, -v4
	v_pack_b32_f16 v2, v3, v2
	v_lshrrev_b32_e32 v3, 16, v8
	s_waitcnt vmcnt(15)
	v_mul_f16_sdwa v4, v11, v3 dst_sel:DWORD dst_unused:UNUSED_PAD src0_sel:WORD_1 src1_sel:DWORD
	v_mul_f16_sdwa v5, v11, v8 dst_sel:DWORD dst_unused:UNUSED_PAD src0_sel:WORD_1 src1_sel:DWORD
	v_fma_f16 v4, v11, v8, v4
	v_fma_f16 v3, v11, v3, -v5
	v_pack_b32_f16 v3, v4, v3
	v_add_u32_e32 v4, 0x16c0, v58
	ds_write2_b32 v4, v2, v3 offset0:2 offset1:245
	v_lshrrev_b32_e32 v2, 16, v10
	s_waitcnt vmcnt(14)
	v_mul_f16_sdwa v3, v12, v2 dst_sel:DWORD dst_unused:UNUSED_PAD src0_sel:WORD_1 src1_sel:DWORD
	v_mul_f16_sdwa v4, v12, v10 dst_sel:DWORD dst_unused:UNUSED_PAD src0_sel:WORD_1 src1_sel:DWORD
	v_fma_f16 v3, v12, v10, v3
	v_fma_f16 v2, v12, v2, -v4
	v_pack_b32_f16 v2, v3, v2
	s_waitcnt vmcnt(13)
	v_lshrrev_b32_e32 v3, 16, v13
	s_waitcnt vmcnt(12)
	v_mul_f16_sdwa v4, v21, v3 dst_sel:DWORD dst_unused:UNUSED_PAD src0_sel:WORD_1 src1_sel:DWORD
	v_mul_f16_sdwa v5, v21, v13 dst_sel:DWORD dst_unused:UNUSED_PAD src0_sel:WORD_1 src1_sel:DWORD
	v_fma_f16 v4, v21, v13, v4
	v_fma_f16 v3, v21, v3, -v5
	v_pack_b32_f16 v3, v4, v3
	v_add_u32_e32 v4, 0x1e40, v58
	ds_write2_b32 v4, v2, v3 offset0:8 offset1:251
	s_waitcnt vmcnt(11)
	v_lshrrev_b32_e32 v2, 16, v22
	s_waitcnt vmcnt(10)
	v_mul_f16_sdwa v3, v23, v2 dst_sel:DWORD dst_unused:UNUSED_PAD src0_sel:WORD_1 src1_sel:DWORD
	v_mul_f16_sdwa v4, v23, v22 dst_sel:DWORD dst_unused:UNUSED_PAD src0_sel:WORD_1 src1_sel:DWORD
	v_fma_f16 v3, v23, v22, v3
	v_fma_f16 v2, v23, v2, -v4
	v_pack_b32_f16 v2, v3, v2
	s_waitcnt vmcnt(9)
	v_lshrrev_b32_e32 v3, 16, v24
	s_waitcnt vmcnt(8)
	v_mul_f16_sdwa v4, v25, v3 dst_sel:DWORD dst_unused:UNUSED_PAD src0_sel:WORD_1 src1_sel:DWORD
	v_mul_f16_sdwa v5, v25, v24 dst_sel:DWORD dst_unused:UNUSED_PAD src0_sel:WORD_1 src1_sel:DWORD
	v_fma_f16 v4, v25, v24, v4
	v_fma_f16 v3, v25, v3, -v5
	v_pack_b32_f16 v3, v4, v3
	v_add_u32_e32 v4, 0x25e0, v58
	ds_write2_b32 v4, v2, v3 offset0:6 offset1:249
	s_waitcnt vmcnt(7)
	;; [unrolled: 18-line block ×3, first 2 shown]
	v_lshrrev_b32_e32 v2, 16, v16
	s_waitcnt vmcnt(2)
	v_mul_f16_sdwa v3, v29, v2 dst_sel:DWORD dst_unused:UNUSED_PAD src0_sel:WORD_1 src1_sel:DWORD
	v_mul_f16_sdwa v4, v29, v16 dst_sel:DWORD dst_unused:UNUSED_PAD src0_sel:WORD_1 src1_sel:DWORD
	v_fma_f16 v3, v29, v16, v3
	v_fma_f16 v2, v29, v2, -v4
	v_pack_b32_f16 v2, v3, v2
	s_waitcnt vmcnt(1)
	v_lshrrev_b32_e32 v3, 16, v30
	s_waitcnt vmcnt(0)
	v_mul_f16_sdwa v4, v31, v3 dst_sel:DWORD dst_unused:UNUSED_PAD src0_sel:WORD_1 src1_sel:DWORD
	v_mul_f16_sdwa v5, v31, v30 dst_sel:DWORD dst_unused:UNUSED_PAD src0_sel:WORD_1 src1_sel:DWORD
	v_fma_f16 v4, v31, v30, v4
	v_fma_f16 v3, v31, v3, -v5
	v_pack_b32_f16 v3, v4, v3
	v_add_u32_e32 v4, 0x3500, v58
	ds_write2_b32 v4, v2, v3 offset0:10 offset1:253
.LBB0_3:
	s_or_b64 exec, exec, s[8:9]
	s_load_dwordx2 s[2:3], s[4:5], 0x20
	s_load_dwordx2 s[14:15], s[4:5], 0x8
	s_waitcnt lgkmcnt(0)
	s_barrier
	s_waitcnt lgkmcnt(0)
                                        ; implicit-def: $vgpr2
                                        ; implicit-def: $vgpr10
                                        ; implicit-def: $vgpr6
                                        ; implicit-def: $vgpr14
                                        ; implicit-def: $vgpr4
                                        ; implicit-def: $vgpr12
                                        ; implicit-def: $vgpr8
                                        ; implicit-def: $vgpr16
	s_and_saveexec_b64 s[4:5], s[0:1]
	s_cbranch_execz .LBB0_5
; %bb.4:
	v_add_u32_e32 v4, 0x780, v58
	v_add_u32_e32 v6, 0xf00, v58
	;; [unrolled: 1-line block ×7, first 2 shown]
	ds_read2_b32 v[2:3], v58 offset1:243
	ds_read2_b32 v[4:5], v4 offset0:6 offset1:249
	ds_read2_b32 v[6:7], v6 offset0:12 offset1:255
	;; [unrolled: 1-line block ×7, first 2 shown]
.LBB0_5:
	s_or_b64 exec, exec, s[4:5]
	s_waitcnt lgkmcnt(3)
	v_pk_add_f16 v10, v2, v10 neg_lo:[0,1] neg_hi:[0,1]
	s_waitcnt lgkmcnt(1)
	v_pk_add_f16 v26, v6, v14 neg_lo:[0,1] neg_hi:[0,1]
	v_pk_add_f16 v27, v4, v12 neg_lo:[0,1] neg_hi:[0,1]
	;; [unrolled: 1-line block ×4, first 2 shown]
	s_waitcnt lgkmcnt(0)
	v_pk_add_f16 v16, v8, v16 neg_lo:[0,1] neg_hi:[0,1]
	v_pk_add_f16 v28, v7, v15 neg_lo:[0,1] neg_hi:[0,1]
	v_pk_add_f16 v17, v9, v17 neg_lo:[0,1] neg_hi:[0,1]
	v_sub_f16_sdwa v23, v10, v26 dst_sel:DWORD dst_unused:UNUSED_PAD src0_sel:DWORD src1_sel:WORD_1
	v_lshrrev_b32_e32 v12, 16, v10
	v_lshrrev_b32_e32 v13, 16, v27
	;; [unrolled: 1-line block ×4, first 2 shown]
	v_add_f16_e32 v22, v26, v12
	v_fma_f16 v15, v10, 2.0, -v23
	v_sub_f16_sdwa v19, v27, v16 dst_sel:DWORD dst_unused:UNUSED_PAD src0_sel:DWORD src1_sel:WORD_1
	v_add_f16_e32 v18, v16, v13
	v_sub_f16_sdwa v25, v11, v28 dst_sel:DWORD dst_unused:UNUSED_PAD src0_sel:DWORD src1_sel:WORD_1
	v_add_f16_e32 v24, v28, v20
	;; [unrolled: 2-line block ×3, first 2 shown]
	v_pk_fma_f16 v2, v2, 2.0, v10 op_sel_hi:[1,0,1] neg_lo:[0,0,1] neg_hi:[0,0,1]
	v_pk_fma_f16 v6, v6, 2.0, v26 op_sel_hi:[1,0,1] neg_lo:[0,0,1] neg_hi:[0,0,1]
	v_pk_fma_f16 v4, v4, 2.0, v27 op_sel_hi:[1,0,1] neg_lo:[0,0,1] neg_hi:[0,0,1]
	v_pk_fma_f16 v8, v8, 2.0, v16 op_sel_hi:[1,0,1] neg_lo:[0,0,1] neg_hi:[0,0,1]
	v_pk_fma_f16 v10, v3, 2.0, v11 op_sel_hi:[1,0,1] neg_lo:[0,0,1] neg_hi:[0,0,1]
	v_pk_fma_f16 v7, v7, 2.0, v28 op_sel_hi:[1,0,1] neg_lo:[0,0,1] neg_hi:[0,0,1]
	v_fma_f16 v12, v12, 2.0, -v22
	v_fma_f16 v14, v27, 2.0, -v19
	;; [unrolled: 1-line block ×7, first 2 shown]
	s_mov_b32 s8, 0xb9a8
	v_pk_fma_f16 v5, v5, 2.0, v29 op_sel_hi:[1,0,1] neg_lo:[0,0,1] neg_hi:[0,0,1]
	v_pk_fma_f16 v9, v9, 2.0, v17 op_sel_hi:[1,0,1] neg_lo:[0,0,1] neg_hi:[0,0,1]
	v_pk_add_f16 v6, v2, v6 neg_lo:[0,1] neg_hi:[0,1]
	v_pk_add_f16 v8, v4, v8 neg_lo:[0,1] neg_hi:[0,1]
	v_pk_add_f16 v28, v10, v7 neg_lo:[0,1] neg_hi:[0,1]
	v_fma_f16 v34, v14, s8, v15
	v_fma_f16 v35, v13, s8, v12
	s_movk_i32 s9, 0x39a8
	v_pk_fma_f16 v3, v2, 2.0, v6 op_sel_hi:[1,0,1] neg_lo:[0,0,1] neg_hi:[0,0,1]
	v_pk_fma_f16 v2, v4, 2.0, v8 op_sel_hi:[1,0,1] neg_lo:[0,0,1] neg_hi:[0,0,1]
	;; [unrolled: 1-line block ×3, first 2 shown]
	v_pk_add_f16 v10, v5, v9 neg_lo:[0,1] neg_hi:[0,1]
	v_lshrrev_b32_e32 v7, 16, v6
	v_fma_f16 v11, v31, s8, v21
	v_fma_f16 v16, v30, s8, v20
	v_lshrrev_b32_e32 v26, 16, v28
	v_fma_f16 v13, v13, s8, v34
	v_fma_f16 v14, v14, s9, v35
	;; [unrolled: 1-line block ×4, first 2 shown]
	v_pk_fma_f16 v5, v5, 2.0, v10 op_sel_hi:[1,0,1] neg_lo:[0,0,1] neg_hi:[0,0,1]
	v_sub_f16_sdwa v9, v6, v8 dst_sel:DWORD dst_unused:UNUSED_PAD src0_sel:DWORD src1_sel:WORD_1
	v_add_f16_e32 v8, v8, v7
	v_fma_f16 v30, v30, s8, v11
	v_fma_f16 v29, v31, s9, v16
	v_sub_f16_sdwa v31, v28, v10 dst_sel:DWORD dst_unused:UNUSED_PAD src0_sel:DWORD src1_sel:WORD_1
	v_add_f16_e32 v27, v10, v26
	v_fma_f16 v10, v32, s9, v25
	v_fma_f16 v11, v33, s9, v24
	s_movk_i32 s10, 0x361f
	v_fma_f16 v18, v18, s8, v34
	v_fma_f16 v19, v19, s9, v35
	;; [unrolled: 1-line block ×5, first 2 shown]
	s_movk_i32 s17, 0x3b64
	v_fma_f16 v17, v27, s9, v8
	v_pk_add_f16 v2, v3, v2 neg_lo:[0,1] neg_hi:[0,1]
	v_pk_add_f16 v5, v4, v5 neg_lo:[0,1] neg_hi:[0,1]
	v_fma_f16 v11, v30, s10, v13
	s_mov_b32 s11, 0xbb64
	v_fma_f16 v65, v30, s17, v16
	v_fma_f16 v16, v31, s9, v9
	;; [unrolled: 1-line block ×4, first 2 shown]
	s_mov_b32 s16, 0xb61f
	v_fma_f16 v34, v32, s17, v19
	v_pk_add_f16 v10, v2, v5 op_sel:[0,1] op_sel_hi:[1,0] neg_lo:[0,1] neg_hi:[0,1]
	v_fma_f16 v11, v29, s11, v11
	v_fma_f16 v16, v27, s8, v16
	;; [unrolled: 1-line block ×4, first 2 shown]
	v_pk_add_f16 v72, v2, v5 op_sel:[0,1] op_sel_hi:[1,0]
	v_lshlrev_b16_e32 v60, 4, v0
	s_barrier
	s_and_saveexec_b64 s[4:5], s[0:1]
	s_cbranch_execz .LBB0_7
; %bb.6:
	v_fma_f16 v25, v25, 2.0, -v33
	v_fma_f16 v23, v23, 2.0, -v18
	v_fma_f16 v24, v24, 2.0, -v32
	v_fma_f16 v32, v25, s16, v23
	v_fma_f16 v22, v22, 2.0, -v19
	v_fma_f16 v32, v24, s11, v32
	v_fma_f16 v24, v24, s16, v22
	v_fma_f16 v15, v15, 2.0, -v13
	v_fma_f16 v21, v21, 2.0, -v30
	v_fma_f16 v24, v25, s17, v24
	v_fma_f16 v25, v28, 2.0, -v31
	v_fma_f16 v28, v21, s11, v15
	v_fma_f16 v20, v20, 2.0, -v29
	v_fma_f16 v12, v12, 2.0, -v14
	v_fma_f16 v28, v20, s16, v28
	v_fma_f16 v20, v20, s11, v12
	v_fma_f16 v29, v21, s10, v20
	v_fma_f16 v23, v23, 2.0, -v32
	v_fma_f16 v22, v22, 2.0, -v24
	;; [unrolled: 1-line block ×5, first 2 shown]
	v_pack_b32_f16 v22, v23, v22
	v_pack_b32_f16 v20, v15, v12
	v_fma_f16 v15, v18, 2.0, -v17
	v_fma_f16 v18, v19, 2.0, -v66
	;; [unrolled: 1-line block ×5, first 2 shown]
	v_fma_f16 v8, v25, s8, v6
	v_fma_f16 v8, v19, s8, v8
	;; [unrolled: 1-line block ×3, first 2 shown]
	s_mov_b32 s18, 0xffff
	v_fma_f16 v25, v25, s9, v19
	v_bfi_b32 v12, s18, v10, v72
	v_fma_f16 v9, v9, 2.0, -v16
	v_fma_f16 v13, v13, 2.0, -v11
	;; [unrolled: 1-line block ×5, first 2 shown]
	v_pk_fma_f16 v19, v3, 2.0, v2 op_sel_hi:[1,0,1] neg_lo:[0,0,1] neg_hi:[0,0,1]
	v_pk_fma_f16 v3, v4, 2.0, v5 op_sel_hi:[1,0,1] neg_lo:[0,0,1] neg_hi:[0,0,1]
	v_lshlrev_b32_e32 v26, 2, v60
	v_pack_b32_f16 v21, v6, v7
	v_pk_add_f16 v3, v19, v3 neg_lo:[0,1] neg_hi:[0,1]
	v_pk_fma_f16 v4, v2, 2.0, v12 op_sel_hi:[1,0,1] neg_lo:[0,0,1] neg_hi:[0,0,1]
	v_pack_b32_f16 v7, v15, v18
	v_pack_b32_f16 v6, v9, v23
	;; [unrolled: 1-line block ×3, first 2 shown]
	s_mov_b32 s8, 0x5040100
	v_pk_fma_f16 v19, v19, 2.0, v3 op_sel_hi:[1,0,1] neg_lo:[0,0,1] neg_hi:[0,0,1]
	ds_write_b128 v26, v[4:7] offset:16
	v_pack_b32_f16 v6, v32, v24
	v_pack_b32_f16 v4, v28, v29
	;; [unrolled: 1-line block ×3, first 2 shown]
	v_perm_b32 v15, v66, v17, s8
	v_perm_b32 v14, v67, v16, s8
	;; [unrolled: 1-line block ×3, first 2 shown]
	ds_write_b128 v26, v[19:22]
	ds_write_b128 v26, v[3:6] offset:32
	ds_write_b128 v26, v[12:15] offset:48
.LBB0_7:
	s_or_b64 exec, exec, s[4:5]
	s_load_dwordx4 s[8:11], s[2:3], 0x0
	s_movk_i32 s2, 0x144
	v_add_co_u32_e32 v39, vcc, s2, v0
	s_movk_i32 s4, 0x3cc
	v_and_b32_e32 v12, 15, v0
	s_mov_b64 s[2:3], vcc
	v_add_co_u32_e32 v38, vcc, s4, v0
	s_movk_i32 s4, 0x288
	v_lshlrev_b32_e32 v2, 3, v12
	v_and_b32_e32 v13, 15, v39
	v_add_co_u32_e32 v42, vcc, s4, v0
	s_waitcnt lgkmcnt(0)
	s_barrier
	global_load_dwordx2 v[2:3], v2, s[14:15]
	v_lshlrev_b32_e32 v4, 3, v13
	global_load_dwordx2 v[4:5], v4, s[14:15]
	v_and_b32_e32 v14, 15, v38
	v_and_b32_e32 v15, 15, v42
	v_lshlrev_b32_e32 v6, 3, v14
	global_load_dwordx2 v[6:7], v6, s[14:15]
	v_lshlrev_b32_e32 v8, 3, v15
	global_load_dwordx2 v[8:9], v8, s[14:15]
	v_mov_b32_e32 v18, 2
	v_lshlrev_b32_sdwa v59, v18, v0 dst_sel:DWORD dst_unused:UNUSED_PAD src0_sel:DWORD src1_sel:WORD_0
	ds_read_b32 v18, v59
	ds_read_b32 v19, v59 offset:1296
	ds_read_b32 v20, v59 offset:2592
	;; [unrolled: 1-line block ×11, first 2 shown]
	s_waitcnt lgkmcnt(5)
	v_lshrrev_b32_e32 v31, 16, v24
	s_waitcnt lgkmcnt(3)
	v_lshrrev_b32_e32 v32, 16, v26
	v_lshrrev_b32_e32 v34, 16, v23
	;; [unrolled: 1-line block ×3, first 2 shown]
	s_waitcnt lgkmcnt(2)
	v_lshrrev_b32_e32 v35, 16, v27
	v_lshrrev_b32_e32 v30, 16, v18
	s_movk_i32 s4, 0x3aee
	s_mov_b32 s5, 0xbaee
	s_waitcnt lgkmcnt(1)
	v_lshrrev_b32_e32 v40, 16, v28
	v_lshrrev_b32_e32 v33, 16, v19
	;; [unrolled: 1-line block ×3, first 2 shown]
	s_waitcnt lgkmcnt(0)
	v_lshrrev_b32_e32 v44, 16, v29
	v_lshrrev_b32_e32 v36, 16, v20
	;; [unrolled: 1-line block ×3, first 2 shown]
	s_waitcnt vmcnt(0)
	s_barrier
	s_mov_b32 s16, 0xaaab
	s_movk_i32 s17, 0x6c
	v_mul_f16_sdwa v45, v31, v2 dst_sel:DWORD dst_unused:UNUSED_PAD src0_sel:DWORD src1_sel:WORD_1
	v_mul_f16_sdwa v47, v32, v3 dst_sel:DWORD dst_unused:UNUSED_PAD src0_sel:DWORD src1_sel:WORD_1
	;; [unrolled: 1-line block ×4, first 2 shown]
	v_fma_f16 v24, v24, v2, -v45
	v_fma_f16 v26, v26, v3, -v47
	v_mul_f16_sdwa v45, v34, v4 dst_sel:DWORD dst_unused:UNUSED_PAD src0_sel:DWORD src1_sel:WORD_1
	v_fma_f16 v31, v31, v2, v46
	v_fma_f16 v32, v32, v3, v48
	v_mul_f16_sdwa v46, v23, v4 dst_sel:DWORD dst_unused:UNUSED_PAD src0_sel:DWORD src1_sel:WORD_1
	v_add_f16_e32 v50, v24, v26
	v_fma_f16 v23, v23, v4, -v45
	v_mul_f16_sdwa v45, v37, v8 dst_sel:DWORD dst_unused:UNUSED_PAD src0_sel:DWORD src1_sel:WORD_1
	v_mul_f16_sdwa v47, v35, v5 dst_sel:DWORD dst_unused:UNUSED_PAD src0_sel:DWORD src1_sel:WORD_1
	v_add_f16_e32 v49, v18, v24
	v_fma_f16 v34, v34, v4, v46
	v_mul_f16_sdwa v46, v21, v8 dst_sel:DWORD dst_unused:UNUSED_PAD src0_sel:DWORD src1_sel:WORD_1
	v_fma_f16 v21, v21, v8, -v45
	v_fma_f16 v18, v50, -0.5, v18
	v_sub_f16_e32 v45, v31, v32
	v_mul_f16_sdwa v48, v27, v5 dst_sel:DWORD dst_unused:UNUSED_PAD src0_sel:DWORD src1_sel:WORD_1
	v_fma_f16 v27, v27, v5, -v47
	v_fma_f16 v37, v37, v8, v46
	v_fma_f16 v46, v45, s4, v18
	;; [unrolled: 1-line block ×3, first 2 shown]
	v_add_f16_e32 v45, v30, v31
	v_add_f16_e32 v31, v31, v32
	v_fma_f16 v35, v35, v5, v48
	v_fma_f16 v30, v31, -0.5, v30
	v_sub_f16_e32 v24, v24, v26
	v_add_f16_e32 v31, v23, v27
	v_mul_f16_sdwa v47, v40, v9 dst_sel:DWORD dst_unused:UNUSED_PAD src0_sel:DWORD src1_sel:WORD_1
	v_add_f16_e32 v49, v49, v26
	v_fma_f16 v26, v24, s5, v30
	v_fma_f16 v24, v24, s4, v30
	v_add_f16_e32 v30, v19, v23
	v_fma_f16 v19, v31, -0.5, v19
	v_sub_f16_e32 v31, v34, v35
	v_mul_f16_sdwa v48, v28, v9 dst_sel:DWORD dst_unused:UNUSED_PAD src0_sel:DWORD src1_sel:WORD_1
	v_fma_f16 v28, v28, v9, -v47
	v_add_f16_e32 v45, v45, v32
	v_fma_f16 v32, v31, s4, v19
	v_fma_f16 v19, v31, s5, v19
	v_add_f16_e32 v31, v33, v34
	v_add_f16_e32 v34, v34, v35
	v_fma_f16 v40, v40, v9, v48
	v_fma_f16 v33, v34, -0.5, v33
	v_sub_f16_e32 v23, v23, v27
	v_add_f16_e32 v34, v21, v28
	v_mul_f16_sdwa v51, v43, v6 dst_sel:DWORD dst_unused:UNUSED_PAD src0_sel:DWORD src1_sel:WORD_1
	v_mul_f16_sdwa v53, v44, v7 dst_sel:DWORD dst_unused:UNUSED_PAD src0_sel:DWORD src1_sel:WORD_1
	v_add_f16_e32 v30, v30, v27
	v_fma_f16 v27, v23, s5, v33
	v_fma_f16 v23, v23, s4, v33
	v_add_f16_e32 v33, v20, v21
	v_fma_f16 v20, v34, -0.5, v20
	v_sub_f16_e32 v34, v37, v40
	v_mul_f16_sdwa v52, v22, v6 dst_sel:DWORD dst_unused:UNUSED_PAD src0_sel:DWORD src1_sel:WORD_1
	v_mul_f16_sdwa v54, v29, v7 dst_sel:DWORD dst_unused:UNUSED_PAD src0_sel:DWORD src1_sel:WORD_1
	v_fma_f16 v22, v22, v6, -v51
	v_fma_f16 v29, v29, v7, -v53
	v_add_f16_e32 v31, v31, v35
	v_fma_f16 v35, v34, s4, v20
	v_fma_f16 v20, v34, s5, v20
	v_add_f16_e32 v34, v36, v37
	v_add_f16_e32 v37, v37, v40
	v_fma_f16 v43, v43, v6, v52
	v_fma_f16 v44, v44, v7, v54
	v_fma_f16 v36, v37, -0.5, v36
	v_sub_f16_e32 v21, v21, v28
	v_add_f16_e32 v37, v22, v29
	v_add_f16_e32 v33, v33, v28
	v_fma_f16 v28, v21, s5, v36
	v_fma_f16 v21, v21, s4, v36
	v_add_f16_e32 v36, v25, v22
	v_fma_f16 v25, v37, -0.5, v25
	v_sub_f16_e32 v37, v43, v44
	v_add_f16_e32 v34, v34, v40
	v_fma_f16 v40, v37, s4, v25
	v_fma_f16 v25, v37, s5, v25
	v_add_f16_e32 v37, v41, v43
	v_add_f16_e32 v43, v43, v44
	v_fma_f16 v41, v43, -0.5, v41
	v_sub_f16_e32 v22, v22, v29
	v_add_f16_e32 v36, v36, v29
	v_fma_f16 v29, v22, s5, v41
	v_fma_f16 v22, v22, s4, v41
	v_lshrrev_b32_e32 v41, 4, v0
	v_mul_u32_u24_e32 v41, 48, v41
	v_or_b32_e32 v12, v41, v12
	v_lshlrev_b32_e32 v61, 2, v12
	v_pack_b32_f16 v12, v49, v45
	v_pack_b32_f16 v26, v46, v26
	ds_write2_b32 v61, v12, v26 offset1:16
	v_pack_b32_f16 v12, v18, v24
	ds_write_b32 v61, v12 offset:128
	v_lshrrev_b32_e32 v12, 4, v39
	v_mul_u32_u24_e32 v12, 48, v12
	v_or_b32_e32 v12, v12, v13
	v_lshlrev_b32_e32 v62, 2, v12
	v_pack_b32_f16 v12, v30, v31
	v_pack_b32_f16 v13, v32, v27
	ds_write2_b32 v62, v12, v13 offset1:16
	v_pack_b32_f16 v12, v19, v23
	ds_write_b32 v62, v12 offset:128
	;; [unrolled: 9-line block ×3, first 2 shown]
	v_lshrrev_b32_e32 v12, 4, v38
	v_mul_u32_u24_e32 v12, 48, v12
	v_add_f16_e32 v37, v37, v44
	v_or_b32_e32 v12, v12, v14
	v_lshlrev_b32_e32 v64, 2, v12
	v_pack_b32_f16 v12, v36, v37
	v_pack_b32_f16 v13, v40, v29
	ds_write2_b32 v64, v12, v13 offset1:16
	v_pack_b32_f16 v12, v25, v22
	ds_write_b32 v64, v12 offset:128
	v_mul_u32_u24_sdwa v12, v0, s16 dst_sel:DWORD dst_unused:UNUSED_PAD src0_sel:WORD_0 src1_sel:DWORD
	v_lshrrev_b32_e32 v22, 21, v12
	v_mul_lo_u16_e32 v12, 48, v22
	v_sub_u16_e32 v23, v0, v12
	v_lshlrev_b16_e32 v12, 3, v23
	v_mov_b32_e32 v43, s15
	v_add_co_u32_e32 v12, vcc, s14, v12
	v_addc_co_u32_e32 v13, vcc, 0, v43, vcc
	s_waitcnt lgkmcnt(0)
	s_barrier
	global_load_dwordx2 v[12:13], v[12:13], off offset:128
	v_mul_u32_u24_sdwa v14, v39, s16 dst_sel:DWORD dst_unused:UNUSED_PAD src0_sel:WORD_0 src1_sel:DWORD
	v_lshrrev_b32_e32 v24, 21, v14
	v_mul_lo_u16_e32 v14, 48, v24
	v_sub_u16_e32 v25, v39, v14
	v_lshlrev_b16_e32 v14, 3, v25
	v_add_co_u32_e32 v14, vcc, s14, v14
	v_addc_co_u32_e32 v15, vcc, 0, v43, vcc
	global_load_dwordx2 v[14:15], v[14:15], off offset:128
	v_mul_u32_u24_sdwa v18, v42, s16 dst_sel:DWORD dst_unused:UNUSED_PAD src0_sel:WORD_0 src1_sel:DWORD
	v_lshrrev_b32_e32 v32, 21, v18
	v_mul_lo_u16_e32 v18, 48, v32
	v_sub_u16_e32 v33, v42, v18
	v_mul_u32_u24_sdwa v20, v38, s16 dst_sel:DWORD dst_unused:UNUSED_PAD src0_sel:WORD_0 src1_sel:DWORD
	v_lshlrev_b16_e32 v18, 3, v33
	v_lshrrev_b32_e32 v34, 21, v20
	v_add_co_u32_e32 v18, vcc, s14, v18
	v_mul_lo_u16_e32 v20, 48, v34
	v_addc_co_u32_e32 v19, vcc, 0, v43, vcc
	v_sub_u16_e32 v35, v38, v20
	ds_read_b32 v26, v59 offset:5184
	ds_read_b32 v27, v59 offset:6480
	;; [unrolled: 1-line block ×5, first 2 shown]
	global_load_dwordx2 v[18:19], v[18:19], off offset:128
	v_lshlrev_b16_e32 v20, 3, v35
	v_add_co_u32_e32 v20, vcc, s14, v20
	v_addc_co_u32_e32 v21, vcc, 0, v43, vcc
	global_load_dwordx2 v[20:21], v[20:21], off offset:128
	s_waitcnt lgkmcnt(4)
	v_lshrrev_b32_e32 v31, 16, v26
	ds_read_b32 v37, v59 offset:10368
	s_movk_i32 s16, 0x90
	v_mad_legacy_u16 v22, v22, s16, v23
	v_lshlrev_b32_e32 v68, 2, v22
	s_waitcnt lgkmcnt(4)
	v_lshrrev_b32_e32 v22, 16, v27
	s_waitcnt lgkmcnt(0)
	v_lshrrev_b32_e32 v44, 16, v37
	v_mad_legacy_u16 v24, v24, s16, v25
	v_lshlrev_b32_e32 v69, 2, v24
	v_lshrrev_b32_e32 v24, 16, v28
	s_waitcnt vmcnt(3)
	v_mul_f16_sdwa v36, v31, v12 dst_sel:DWORD dst_unused:UNUSED_PAD src0_sel:DWORD src1_sel:WORD_1
	v_fma_f16 v36, v26, v12, -v36
	v_mul_f16_sdwa v26, v26, v12 dst_sel:DWORD dst_unused:UNUSED_PAD src0_sel:DWORD src1_sel:WORD_1
	v_fma_f16 v26, v31, v12, v26
	ds_read_b32 v31, v59 offset:11664
	ds_read_b32 v40, v59 offset:12960
	;; [unrolled: 1-line block ×3, first 2 shown]
	ds_read_b32 v46, v59
	v_mul_f16_sdwa v45, v44, v13 dst_sel:DWORD dst_unused:UNUSED_PAD src0_sel:DWORD src1_sel:WORD_1
	v_fma_f16 v45, v37, v13, -v45
	v_mul_f16_sdwa v37, v37, v13 dst_sel:DWORD dst_unused:UNUSED_PAD src0_sel:DWORD src1_sel:WORD_1
	v_fma_f16 v37, v44, v13, v37
	s_waitcnt lgkmcnt(0)
	v_lshrrev_b32_e32 v48, 16, v46
	v_add_f16_e32 v49, v48, v26
	v_add_f16_e32 v49, v49, v37
	v_sub_f16_e32 v50, v26, v37
	v_add_f16_e32 v26, v26, v37
	v_add_f16_e32 v37, v36, v45
	v_fma_f16 v37, v37, -0.5, v46
	v_add_f16_e32 v46, v46, v36
	v_fma_f16 v26, v26, -0.5, v48
	v_add_f16_e32 v46, v46, v45
	v_sub_f16_e32 v36, v36, v45
	v_pack_b32_f16 v23, v46, v49
	v_fma_f16 v45, v50, s4, v37
	v_fma_f16 v46, v36, s5, v26
	v_pack_b32_f16 v45, v45, v46
	ds_read_b32 v44, v59 offset:1296
	ds_read_b32 v47, v59 offset:2592
	s_waitcnt vmcnt(0) lgkmcnt(0)
	s_barrier
	ds_write2_b32 v68, v23, v45 offset1:48
	v_mul_f16_sdwa v23, v22, v14 dst_sel:DWORD dst_unused:UNUSED_PAD src0_sel:DWORD src1_sel:WORD_1
	v_fma_f16 v23, v27, v14, -v23
	v_mul_f16_sdwa v27, v27, v14 dst_sel:DWORD dst_unused:UNUSED_PAD src0_sel:DWORD src1_sel:WORD_1
	v_fma_f16 v22, v22, v14, v27
	v_lshrrev_b32_e32 v27, 16, v31
	v_mul_f16_sdwa v45, v27, v15 dst_sel:DWORD dst_unused:UNUSED_PAD src0_sel:DWORD src1_sel:WORD_1
	v_fma_f16 v45, v31, v15, -v45
	v_mul_f16_sdwa v31, v31, v15 dst_sel:DWORD dst_unused:UNUSED_PAD src0_sel:DWORD src1_sel:WORD_1
	v_fma_f16 v26, v36, s4, v26
	v_lshrrev_b32_e32 v36, 16, v44
	v_fma_f16 v27, v27, v15, v31
	v_fma_f16 v31, v50, s5, v37
	v_add_f16_e32 v37, v36, v22
	v_add_f16_e32 v37, v37, v27
	v_sub_f16_e32 v46, v22, v27
	v_add_f16_e32 v22, v22, v27
	v_add_f16_e32 v27, v23, v45
	v_fma_f16 v22, v22, -0.5, v36
	v_fma_f16 v27, v27, -0.5, v44
	v_add_f16_e32 v36, v44, v23
	v_sub_f16_e32 v23, v23, v45
	v_pack_b32_f16 v26, v31, v26
	v_add_f16_e32 v36, v36, v45
	ds_write_b32 v68, v26 offset:384
	v_fma_f16 v26, v46, s4, v27
	v_fma_f16 v31, v23, s5, v22
	v_pack_b32_f16 v25, v36, v37
	v_pack_b32_f16 v26, v26, v31
	ds_write2_b32 v69, v25, v26 offset1:48
	v_mul_f16_sdwa v26, v28, v18 dst_sel:DWORD dst_unused:UNUSED_PAD src0_sel:DWORD src1_sel:WORD_1
	v_mul_f16_sdwa v25, v24, v18 dst_sel:DWORD dst_unused:UNUSED_PAD src0_sel:DWORD src1_sel:WORD_1
	v_fma_f16 v24, v24, v18, v26
	v_lshrrev_b32_e32 v26, 16, v40
	v_mul_f16_sdwa v31, v40, v19 dst_sel:DWORD dst_unused:UNUSED_PAD src0_sel:DWORD src1_sel:WORD_1
	v_fma_f16 v25, v28, v18, -v25
	v_mul_f16_sdwa v28, v26, v19 dst_sel:DWORD dst_unused:UNUSED_PAD src0_sel:DWORD src1_sel:WORD_1
	v_fma_f16 v26, v26, v19, v31
	v_lshrrev_b32_e32 v31, 16, v29
	v_mul_f16_sdwa v36, v31, v20 dst_sel:DWORD dst_unused:UNUSED_PAD src0_sel:DWORD src1_sel:WORD_1
	v_fma_f16 v28, v40, v19, -v28
	v_fma_f16 v36, v29, v20, -v36
	v_mul_f16_sdwa v29, v29, v20 dst_sel:DWORD dst_unused:UNUSED_PAD src0_sel:DWORD src1_sel:WORD_1
	v_fma_f16 v29, v31, v20, v29
	v_lshrrev_b32_e32 v31, 16, v41
	v_mul_f16_sdwa v40, v41, v21 dst_sel:DWORD dst_unused:UNUSED_PAD src0_sel:DWORD src1_sel:WORD_1
	v_fma_f16 v22, v23, s4, v22
	v_add_f16_e32 v23, v25, v28
	v_mul_f16_sdwa v37, v31, v21 dst_sel:DWORD dst_unused:UNUSED_PAD src0_sel:DWORD src1_sel:WORD_1
	v_fma_f16 v31, v31, v21, v40
	v_fma_f16 v23, v23, -0.5, v47
	v_sub_f16_e32 v40, v24, v26
	v_fma_f16 v37, v41, v21, -v37
	v_fma_f16 v41, v40, s4, v23
	v_fma_f16 v23, v40, s5, v23
	v_lshrrev_b32_e32 v40, 16, v47
	v_add_f16_e32 v44, v40, v24
	v_add_f16_e32 v24, v24, v26
	;; [unrolled: 1-line block ×3, first 2 shown]
	v_fma_f16 v24, v24, -0.5, v40
	v_add_f16_e32 v26, v47, v25
	v_sub_f16_e32 v25, v25, v28
	v_fma_f16 v27, v46, s5, v27
	v_add_f16_e32 v26, v26, v28
	v_fma_f16 v28, v25, s5, v24
	v_fma_f16 v24, v25, s4, v24
	v_add_f16_e32 v25, v36, v37
	v_fma_f16 v25, v25, -0.5, v30
	v_sub_f16_e32 v40, v29, v31
	v_pack_b32_f16 v22, v27, v22
	v_fma_f16 v45, v40, s4, v25
	v_fma_f16 v25, v40, s5, v25
	v_lshrrev_b32_e32 v40, 16, v30
	ds_write_b32 v69, v22 offset:384
	v_mad_legacy_u16 v22, v32, s16, v33
	v_add_f16_e32 v46, v40, v29
	v_add_f16_e32 v29, v29, v31
	v_lshlrev_b32_e32 v70, 2, v22
	v_pack_b32_f16 v22, v26, v44
	v_pack_b32_f16 v26, v41, v28
	v_add_f16_e32 v46, v46, v31
	v_fma_f16 v29, v29, -0.5, v40
	v_add_f16_e32 v30, v30, v36
	v_sub_f16_e32 v31, v36, v37
	ds_write2_b32 v70, v22, v26 offset1:48
	v_pack_b32_f16 v22, v23, v24
	v_add_f16_e32 v30, v30, v37
	v_fma_f16 v36, v31, s5, v29
	ds_write_b32 v70, v22 offset:384
	v_mad_legacy_u16 v22, v34, s16, v35
	v_fma_f16 v29, v31, s4, v29
	v_lshlrev_b32_e32 v71, 2, v22
	v_pack_b32_f16 v22, v30, v46
	v_pack_b32_f16 v23, v45, v36
	ds_write2_b32 v71, v22, v23 offset1:48
	v_pack_b32_f16 v22, v25, v29
	s_mov_b32 s16, 0xe38f
	ds_write_b32 v71, v22 offset:384
	v_mul_u32_u24_sdwa v22, v0, s16 dst_sel:DWORD dst_unused:UNUSED_PAD src0_sel:WORD_0 src1_sel:DWORD
	v_lshrrev_b32_e32 v30, 23, v22
	v_mul_lo_u16_e32 v22, 0x90, v30
	v_sub_u16_e32 v31, v0, v22
	v_lshlrev_b16_e32 v22, 3, v31
	v_add_co_u32_e32 v22, vcc, s14, v22
	v_addc_co_u32_e32 v23, vcc, 0, v43, vcc
	s_waitcnt lgkmcnt(0)
	s_barrier
	global_load_dwordx2 v[22:23], v[22:23], off offset:512
	v_mul_u32_u24_sdwa v24, v39, s16 dst_sel:DWORD dst_unused:UNUSED_PAD src0_sel:WORD_0 src1_sel:DWORD
	v_lshrrev_b32_e32 v32, 23, v24
	v_mul_lo_u16_e32 v24, 0x90, v32
	v_sub_u16_e32 v33, v39, v24
	v_lshlrev_b16_e32 v24, 3, v33
	v_add_co_u32_e32 v24, vcc, s14, v24
	v_addc_co_u32_e32 v25, vcc, 0, v43, vcc
	global_load_dwordx2 v[24:25], v[24:25], off offset:512
	v_mul_u32_u24_sdwa v26, v42, s16 dst_sel:DWORD dst_unused:UNUSED_PAD src0_sel:WORD_0 src1_sel:DWORD
	v_lshrrev_b32_e32 v34, 23, v26
	v_mul_lo_u16_e32 v26, 0x90, v34
	v_sub_u16_e32 v35, v42, v26
	v_lshlrev_b16_e32 v26, 3, v35
	v_mul_u32_u24_sdwa v28, v38, s16 dst_sel:DWORD dst_unused:UNUSED_PAD src0_sel:WORD_0 src1_sel:DWORD
	v_add_co_u32_e32 v26, vcc, s14, v26
	v_lshrrev_b32_e32 v36, 23, v28
	v_addc_co_u32_e32 v27, vcc, 0, v43, vcc
	v_mul_lo_u16_e32 v28, 0x90, v36
	v_sub_u16_e32 v37, v38, v28
	global_load_dwordx2 v[28:29], v[26:27], off offset:512
	v_lshlrev_b16_e32 v40, 3, v37
	v_add_co_u32_e32 v26, vcc, s14, v40
	v_addc_co_u32_e32 v27, vcc, 0, v43, vcc
	global_load_dwordx2 v[26:27], v[26:27], off offset:512
	ds_read_b32 v40, v59 offset:5184
	ds_read_b32 v41, v59 offset:6480
	ds_read_b32 v44, v59 offset:7776
	ds_read_b32 v45, v59 offset:9072
	ds_read_b32 v46, v59 offset:3888
	s_waitcnt lgkmcnt(4)
	v_lshrrev_b32_e32 v47, 16, v40
	ds_read_b32 v49, v59 offset:10368
	s_movk_i32 s16, 0x1b0
	v_mad_legacy_u16 v30, v30, s16, v31
	v_lshlrev_b32_e32 v73, 2, v30
	s_waitcnt lgkmcnt(4)
	v_lshrrev_b32_e32 v30, 16, v41
	s_waitcnt lgkmcnt(0)
	v_lshrrev_b32_e32 v52, 16, v49
	v_mad_legacy_u16 v32, v32, s16, v33
	s_waitcnt vmcnt(3)
	v_mul_f16_sdwa v48, v47, v22 dst_sel:DWORD dst_unused:UNUSED_PAD src0_sel:DWORD src1_sel:WORD_1
	v_fma_f16 v48, v40, v22, -v48
	v_mul_f16_sdwa v40, v40, v22 dst_sel:DWORD dst_unused:UNUSED_PAD src0_sel:DWORD src1_sel:WORD_1
	v_fma_f16 v40, v47, v22, v40
	ds_read_b32 v47, v59 offset:11664
	ds_read_b32 v50, v59 offset:12960
	;; [unrolled: 1-line block ×3, first 2 shown]
	ds_read_b32 v54, v59
	v_mul_f16_sdwa v53, v52, v23 dst_sel:DWORD dst_unused:UNUSED_PAD src0_sel:DWORD src1_sel:WORD_1
	v_fma_f16 v53, v49, v23, -v53
	v_mul_f16_sdwa v49, v49, v23 dst_sel:DWORD dst_unused:UNUSED_PAD src0_sel:DWORD src1_sel:WORD_1
	v_fma_f16 v49, v52, v23, v49
	s_waitcnt lgkmcnt(0)
	v_lshrrev_b32_e32 v56, 16, v54
	v_add_f16_e32 v57, v56, v40
	v_add_f16_e32 v57, v57, v49
	v_sub_f16_e32 v74, v40, v49
	v_add_f16_e32 v40, v40, v49
	v_add_f16_e32 v49, v48, v53
	v_fma_f16 v49, v49, -0.5, v54
	v_add_f16_e32 v54, v54, v48
	v_fma_f16 v40, v40, -0.5, v56
	v_add_f16_e32 v54, v54, v53
	v_sub_f16_e32 v48, v48, v53
	v_pack_b32_f16 v31, v54, v57
	v_fma_f16 v53, v74, s4, v49
	v_fma_f16 v54, v48, s5, v40
	v_pack_b32_f16 v53, v53, v54
	ds_read_b32 v52, v59 offset:1296
	ds_read_b32 v55, v59 offset:2592
	s_waitcnt vmcnt(0) lgkmcnt(0)
	s_barrier
	ds_write2_b32 v73, v31, v53 offset1:144
	v_mul_f16_sdwa v31, v30, v24 dst_sel:DWORD dst_unused:UNUSED_PAD src0_sel:DWORD src1_sel:WORD_1
	v_fma_f16 v31, v41, v24, -v31
	v_mul_f16_sdwa v41, v41, v24 dst_sel:DWORD dst_unused:UNUSED_PAD src0_sel:DWORD src1_sel:WORD_1
	v_fma_f16 v30, v30, v24, v41
	v_lshrrev_b32_e32 v41, 16, v47
	v_mul_f16_sdwa v53, v41, v25 dst_sel:DWORD dst_unused:UNUSED_PAD src0_sel:DWORD src1_sel:WORD_1
	v_fma_f16 v53, v47, v25, -v53
	v_mul_f16_sdwa v47, v47, v25 dst_sel:DWORD dst_unused:UNUSED_PAD src0_sel:DWORD src1_sel:WORD_1
	v_fma_f16 v40, v48, s4, v40
	v_lshrrev_b32_e32 v48, 16, v52
	v_fma_f16 v41, v41, v25, v47
	v_fma_f16 v47, v74, s5, v49
	v_add_f16_e32 v49, v48, v30
	v_add_f16_e32 v49, v49, v41
	v_sub_f16_e32 v54, v30, v41
	v_add_f16_e32 v30, v30, v41
	v_add_f16_e32 v41, v31, v53
	v_fma_f16 v30, v30, -0.5, v48
	v_fma_f16 v41, v41, -0.5, v52
	v_add_f16_e32 v48, v52, v31
	v_sub_f16_e32 v31, v31, v53
	v_pack_b32_f16 v40, v47, v40
	v_add_f16_e32 v48, v48, v53
	ds_write_b32 v73, v40 offset:1152
	v_fma_f16 v40, v54, s4, v41
	v_fma_f16 v47, v31, s5, v30
	v_pack_b32_f16 v33, v48, v49
	v_pack_b32_f16 v40, v40, v47
	v_lshlrev_b32_e32 v74, 2, v32
	ds_write2_b32 v74, v33, v40 offset1:144
	v_lshrrev_b32_e32 v32, 16, v44
	v_mul_f16_sdwa v40, v44, v28 dst_sel:DWORD dst_unused:UNUSED_PAD src0_sel:DWORD src1_sel:WORD_1
	v_mul_f16_sdwa v33, v32, v28 dst_sel:DWORD dst_unused:UNUSED_PAD src0_sel:DWORD src1_sel:WORD_1
	v_fma_f16 v32, v32, v28, v40
	v_lshrrev_b32_e32 v40, 16, v50
	v_mul_f16_sdwa v47, v50, v29 dst_sel:DWORD dst_unused:UNUSED_PAD src0_sel:DWORD src1_sel:WORD_1
	v_fma_f16 v33, v44, v28, -v33
	v_mul_f16_sdwa v44, v40, v29 dst_sel:DWORD dst_unused:UNUSED_PAD src0_sel:DWORD src1_sel:WORD_1
	v_fma_f16 v40, v40, v29, v47
	v_fma_f16 v30, v31, s4, v30
	v_lshrrev_b32_e32 v31, 16, v55
	v_fma_f16 v44, v50, v29, -v44
	v_add_f16_e32 v47, v31, v32
	v_sub_f16_e32 v48, v32, v40
	v_add_f16_e32 v32, v32, v40
	v_fma_f16 v41, v54, s5, v41
	v_add_f16_e32 v47, v47, v40
	v_fma_f16 v31, v32, -0.5, v31
	v_add_f16_e32 v32, v33, v44
	v_add_f16_e32 v40, v55, v33
	v_fma_f16 v32, v32, -0.5, v55
	v_add_f16_e32 v40, v40, v44
	v_sub_f16_e32 v33, v33, v44
	v_pack_b32_f16 v30, v41, v30
	ds_write_b32 v74, v30 offset:1152
	v_mad_legacy_u16 v30, v34, s16, v35
	v_pack_b32_f16 v34, v40, v47
	v_fma_f16 v35, v48, s4, v32
	v_fma_f16 v40, v33, s5, v31
	v_pack_b32_f16 v35, v35, v40
	v_lshlrev_b32_e32 v75, 2, v30
	ds_write2_b32 v75, v34, v35 offset1:144
	v_lshrrev_b32_e32 v30, 16, v45
	v_mul_f16_sdwa v35, v45, v26 dst_sel:DWORD dst_unused:UNUSED_PAD src0_sel:DWORD src1_sel:WORD_1
	v_mul_f16_sdwa v34, v30, v26 dst_sel:DWORD dst_unused:UNUSED_PAD src0_sel:DWORD src1_sel:WORD_1
	v_fma_f16 v30, v30, v26, v35
	v_lshrrev_b32_e32 v35, 16, v51
	v_mul_f16_sdwa v41, v51, v27 dst_sel:DWORD dst_unused:UNUSED_PAD src0_sel:DWORD src1_sel:WORD_1
	v_mul_f16_sdwa v40, v35, v27 dst_sel:DWORD dst_unused:UNUSED_PAD src0_sel:DWORD src1_sel:WORD_1
	v_fma_f16 v35, v35, v27, v41
	v_fma_f16 v31, v33, s4, v31
	v_lshrrev_b32_e32 v33, 16, v46
	v_fma_f16 v34, v45, v26, -v34
	v_fma_f16 v40, v51, v27, -v40
	v_add_f16_e32 v41, v33, v30
	v_sub_f16_e32 v44, v30, v35
	v_add_f16_e32 v30, v30, v35
	v_fma_f16 v32, v48, s5, v32
	v_add_f16_e32 v41, v41, v35
	v_fma_f16 v30, v30, -0.5, v33
	v_add_f16_e32 v33, v34, v40
	v_add_f16_e32 v35, v46, v34
	v_fma_f16 v33, v33, -0.5, v46
	v_add_f16_e32 v35, v35, v40
	v_sub_f16_e32 v34, v34, v40
	v_pack_b32_f16 v31, v32, v31
	ds_write_b32 v75, v31 offset:1152
	v_mad_legacy_u16 v31, v36, s16, v37
	v_pack_b32_f16 v32, v35, v41
	v_fma_f16 v35, v44, s4, v33
	v_fma_f16 v36, v34, s5, v30
	s_movk_i32 s16, 0xff94
	v_pack_b32_f16 v35, v35, v36
	v_lshlrev_b32_e32 v76, 2, v31
	v_fma_f16 v31, v44, s5, v33
	v_add_co_u32_e32 v33, vcc, s16, v0
	ds_write2_b32 v76, v32, v35 offset1:144
	v_addc_co_u32_e64 v32, s[2:3], 0, 0, s[2:3]
	v_fma_f16 v30, v34, s4, v30
	v_addc_co_u32_e64 v34, s[2:3], 0, -1, vcc
	v_cmp_gt_u16_e32 vcc, s17, v0
	v_cndmask_b32_e32 v41, v34, v32, vcc
	v_cndmask_b32_e32 v40, v33, v39, vcc
	v_pack_b32_f16 v30, v31, v30
	v_lshlrev_b32_e32 v44, 3, v0
	v_lshlrev_b64 v[32:33], 3, v[40:41]
	ds_write_b32 v76, v30 offset:1152
	s_waitcnt lgkmcnt(0)
	s_barrier
	global_load_dwordx2 v[30:31], v44, s[14:15] offset:1664
	v_add_co_u32_e32 v32, vcc, s14, v32
	v_lshrrev_b16_e32 v34, 4, v42
	v_addc_co_u32_e32 v33, vcc, v43, v33, vcc
	global_load_dwordx2 v[32:33], v[32:33], off offset:1664
	v_mul_u32_u24_e32 v34, 0x12f7, v34
	v_lshrrev_b32_e32 v41, 17, v34
	v_mul_lo_u16_e32 v34, 0x1b0, v41
	v_sub_u16_e32 v45, v42, v34
	v_lshlrev_b16_e32 v34, 3, v45
	v_add_co_u32_e32 v34, vcc, s14, v34
	v_lshrrev_b16_e32 v36, 4, v38
	v_addc_co_u32_e32 v35, vcc, 0, v43, vcc
	global_load_dwordx2 v[34:35], v[34:35], off offset:1664
	v_mul_u32_u24_e32 v36, 0x12f7, v36
	v_lshrrev_b32_e32 v36, 17, v36
	v_mul_lo_u16_e32 v36, 0x1b0, v36
	v_sub_u16_e32 v46, v38, v36
	v_lshlrev_b16_e32 v36, 3, v46
	v_add_co_u32_e32 v36, vcc, s14, v36
	v_addc_co_u32_e32 v37, vcc, 0, v43, vcc
	global_load_dwordx2 v[36:37], v[36:37], off offset:1664
	s_movk_i32 s2, 0x6b
	v_mov_b32_e32 v47, 0x510
	v_cmp_lt_u16_e32 vcc, s2, v0
	v_cndmask_b32_e32 v47, 0, v47, vcc
	v_add_lshl_u32 v77, v40, v47, 2
	ds_read_b32 v40, v59 offset:5184
	ds_read_b32 v47, v59 offset:6480
	;; [unrolled: 1-line block ×4, first 2 shown]
	ds_read_b32 v50, v59
	ds_read_b32 v51, v59 offset:1296
	ds_read_b32 v52, v59 offset:2592
	ds_read_b32 v53, v59 offset:3888
	ds_read_b32 v56, v59 offset:10368
	s_waitcnt lgkmcnt(8)
	v_lshrrev_b32_e32 v54, 16, v40
	s_movk_i32 s2, 0x510
	v_lshlrev_b32_e32 v39, 3, v39
	v_add_co_u32_e32 v39, vcc, s14, v39
	s_waitcnt lgkmcnt(0)
	v_lshrrev_b32_e32 v79, 16, v56
	v_lshlrev_b32_e32 v38, 3, v38
	v_lshlrev_b32_e32 v42, 3, v42
	s_waitcnt vmcnt(3)
	v_mul_f16_sdwa v55, v54, v30 dst_sel:DWORD dst_unused:UNUSED_PAD src0_sel:DWORD src1_sel:WORD_1
	v_mul_f16_sdwa v80, v79, v31 dst_sel:DWORD dst_unused:UNUSED_PAD src0_sel:DWORD src1_sel:WORD_1
	v_fma_f16 v55, v40, v30, -v55
	v_mul_f16_sdwa v40, v40, v30 dst_sel:DWORD dst_unused:UNUSED_PAD src0_sel:DWORD src1_sel:WORD_1
	v_fma_f16 v80, v56, v31, -v80
	v_mul_f16_sdwa v56, v56, v31 dst_sel:DWORD dst_unused:UNUSED_PAD src0_sel:DWORD src1_sel:WORD_1
	v_fma_f16 v40, v54, v30, v40
	ds_read_b32 v54, v59 offset:11664
	ds_read_b32 v57, v59 offset:12960
	;; [unrolled: 1-line block ×3, first 2 shown]
	v_fma_f16 v56, v79, v31, v56
	v_lshrrev_b32_e32 v79, 16, v47
	s_waitcnt vmcnt(2)
	v_mul_f16_sdwa v81, v79, v32 dst_sel:DWORD dst_unused:UNUSED_PAD src0_sel:DWORD src1_sel:WORD_1
	v_fma_f16 v81, v47, v32, -v81
	v_mul_f16_sdwa v47, v47, v32 dst_sel:DWORD dst_unused:UNUSED_PAD src0_sel:DWORD src1_sel:WORD_1
	v_fma_f16 v47, v79, v32, v47
	s_waitcnt lgkmcnt(2)
	v_lshrrev_b32_e32 v79, 16, v54
	v_mul_f16_sdwa v82, v79, v33 dst_sel:DWORD dst_unused:UNUSED_PAD src0_sel:DWORD src1_sel:WORD_1
	v_fma_f16 v82, v54, v33, -v82
	v_mul_f16_sdwa v54, v54, v33 dst_sel:DWORD dst_unused:UNUSED_PAD src0_sel:DWORD src1_sel:WORD_1
	v_fma_f16 v54, v79, v33, v54
	v_lshrrev_b32_e32 v79, 16, v48
	s_waitcnt vmcnt(1)
	v_mul_f16_sdwa v83, v79, v34 dst_sel:DWORD dst_unused:UNUSED_PAD src0_sel:DWORD src1_sel:WORD_1
	v_fma_f16 v83, v48, v34, -v83
	v_mul_f16_sdwa v48, v48, v34 dst_sel:DWORD dst_unused:UNUSED_PAD src0_sel:DWORD src1_sel:WORD_1
	v_fma_f16 v48, v79, v34, v48
	s_waitcnt lgkmcnt(1)
	v_lshrrev_b32_e32 v79, 16, v57
	v_mul_f16_sdwa v84, v79, v35 dst_sel:DWORD dst_unused:UNUSED_PAD src0_sel:DWORD src1_sel:WORD_1
	v_fma_f16 v84, v57, v35, -v84
	v_mul_f16_sdwa v57, v57, v35 dst_sel:DWORD dst_unused:UNUSED_PAD src0_sel:DWORD src1_sel:WORD_1
	;; [unrolled: 12-line block ×3, first 2 shown]
	v_fma_f16 v78, v79, v37, v78
	v_add_f16_e32 v79, v55, v80
	v_fma_f16 v79, v79, -0.5, v50
	v_sub_f16_e32 v87, v40, v56
	v_fma_f16 v88, v87, s4, v79
	v_fma_f16 v79, v87, s5, v79
	v_lshrrev_b32_e32 v87, 16, v50
	v_add_f16_e32 v89, v87, v40
	v_add_f16_e32 v40, v40, v56
	v_fma_f16 v40, v40, -0.5, v87
	v_add_f16_e32 v50, v50, v55
	v_sub_f16_e32 v55, v55, v80
	v_add_f16_e32 v89, v89, v56
	v_fma_f16 v56, v55, s5, v40
	v_fma_f16 v40, v55, s4, v40
	v_add_f16_e32 v55, v81, v82
	v_add_f16_e32 v50, v50, v80
	v_fma_f16 v55, v55, -0.5, v51
	v_sub_f16_e32 v80, v47, v54
	v_fma_f16 v87, v80, s4, v55
	v_fma_f16 v55, v80, s5, v55
	v_lshrrev_b32_e32 v80, 16, v51
	v_add_f16_e32 v90, v80, v47
	v_add_f16_e32 v47, v47, v54
	;; [unrolled: 1-line block ×3, first 2 shown]
	v_fma_f16 v47, v47, -0.5, v80
	v_sub_f16_e32 v54, v81, v82
	v_fma_f16 v80, v54, s5, v47
	v_fma_f16 v47, v54, s4, v47
	v_add_f16_e32 v54, v83, v84
	v_add_f16_e32 v51, v51, v81
	v_fma_f16 v54, v54, -0.5, v52
	v_sub_f16_e32 v81, v48, v57
	v_add_f16_e32 v51, v51, v82
	v_fma_f16 v82, v81, s4, v54
	v_fma_f16 v54, v81, s5, v54
	v_lshrrev_b32_e32 v81, 16, v52
	v_add_f16_e32 v91, v81, v48
	v_add_f16_e32 v48, v48, v57
	;; [unrolled: 1-line block ×3, first 2 shown]
	v_fma_f16 v48, v48, -0.5, v81
	v_sub_f16_e32 v57, v83, v84
	v_fma_f16 v81, v57, s5, v48
	v_fma_f16 v48, v57, s4, v48
	v_add_f16_e32 v57, v85, v86
	v_pack_b32_f16 v50, v50, v89
	v_pack_b32_f16 v40, v79, v40
	v_add_f16_e32 v52, v52, v83
	v_fma_f16 v57, v57, -0.5, v53
	v_sub_f16_e32 v83, v49, v78
	s_barrier
	ds_write_b32 v59, v50
	v_pack_b32_f16 v50, v88, v56
	ds_write_b32 v59, v40 offset:3456
	v_pack_b32_f16 v40, v51, v90
	v_add_f16_e32 v52, v52, v84
	v_fma_f16 v84, v83, s4, v57
	v_fma_f16 v57, v83, s5, v57
	v_lshrrev_b32_e32 v83, 16, v53
	ds_write_b32 v59, v50 offset:1728
	ds_write_b32 v77, v40
	v_pack_b32_f16 v40, v87, v80
	v_add_f16_e32 v92, v83, v49
	v_add_f16_e32 v49, v49, v78
	ds_write_b32 v77, v40 offset:1728
	v_pack_b32_f16 v40, v55, v47
	v_add_f16_e32 v92, v92, v78
	v_fma_f16 v49, v49, -0.5, v83
	v_sub_f16_e32 v78, v85, v86
	ds_write_b32 v77, v40 offset:3456
	v_mad_legacy_u16 v40, v41, s2, v45
	v_add_f16_e32 v53, v53, v85
	v_fma_f16 v83, v78, s5, v49
	v_fma_f16 v49, v78, s4, v49
	v_lshlrev_b32_e32 v78, 2, v40
	v_pack_b32_f16 v40, v82, v81
	v_add_f16_e32 v53, v53, v86
	ds_write_b32 v78, v40 offset:1728
	v_pack_b32_f16 v40, v54, v48
	v_pack_b32_f16 v41, v52, v91
	ds_write_b32 v78, v40 offset:3456
	v_pack_b32_f16 v40, v53, v92
	v_lshlrev_b32_e32 v79, 2, v46
	ds_write_b32 v78, v41
	ds_write_b32 v79, v40 offset:10368
	v_pack_b32_f16 v40, v84, v83
	ds_write_b32 v79, v40 offset:12096
	v_pack_b32_f16 v40, v57, v49
	ds_write_b32 v79, v40 offset:13824
	s_movk_i32 s2, 0x1000
	v_addc_co_u32_e32 v40, vcc, 0, v43, vcc
	v_add_co_u32_e32 v39, vcc, s2, v39
	v_addc_co_u32_e32 v40, vcc, 0, v40, vcc
	s_waitcnt lgkmcnt(0)
	s_barrier
	global_load_dwordx2 v[40:41], v[39:40], off offset:1024
	v_add_co_u32_e32 v38, vcc, s14, v38
	v_addc_co_u32_e32 v39, vcc, 0, v43, vcc
	v_add_co_u32_e32 v38, vcc, s2, v38
	v_addc_co_u32_e32 v39, vcc, 0, v39, vcc
	global_load_dwordx2 v[38:39], v[38:39], off offset:1024
	v_add_co_u32_e32 v44, vcc, s14, v44
	v_addc_co_u32_e32 v45, vcc, 0, v43, vcc
	v_add_co_u32_e32 v44, vcc, s2, v44
	v_addc_co_u32_e32 v45, vcc, 0, v45, vcc
	;; [unrolled: 2-line block ×4, first 2 shown]
	global_load_dwordx2 v[42:43], v[42:43], off offset:1024
	s_nop 0
	global_load_dwordx2 v[44:45], v[44:45], off offset:1024
	ds_read_b32 v46, v59 offset:6480
	ds_read_b32 v48, v59 offset:9072
	;; [unrolled: 1-line block ×5, first 2 shown]
	s_waitcnt lgkmcnt(4)
	v_lshrrev_b32_e32 v47, 16, v46
	s_waitcnt vmcnt(3)
	v_mul_f16_sdwa v51, v47, v40 dst_sel:DWORD dst_unused:UNUSED_PAD src0_sel:DWORD src1_sel:WORD_1
	v_fma_f16 v53, v46, v40, -v51
	v_mul_f16_sdwa v46, v46, v40 dst_sel:DWORD dst_unused:UNUSED_PAD src0_sel:DWORD src1_sel:WORD_1
	ds_read_b32 v51, v59 offset:14256
	ds_read_b32 v57, v59 offset:12960
	;; [unrolled: 1-line block ×4, first 2 shown]
	v_fma_f16 v56, v47, v40, v46
	s_waitcnt lgkmcnt(4)
	v_lshrrev_b32_e32 v46, 16, v52
	v_mul_f16_sdwa v47, v46, v41 dst_sel:DWORD dst_unused:UNUSED_PAD src0_sel:DWORD src1_sel:WORD_1
	v_fma_f16 v84, v52, v41, -v47
	v_mul_f16_sdwa v47, v52, v41 dst_sel:DWORD dst_unused:UNUSED_PAD src0_sel:DWORD src1_sel:WORD_1
	v_fma_f16 v52, v46, v41, v47
	v_add_f16_e32 v46, v53, v84
	s_waitcnt lgkmcnt(0)
	v_fma_f16 v47, v46, -0.5, v82
	v_sub_f16_e32 v54, v56, v52
	v_fma_f16 v46, v54, s4, v47
	v_fma_f16 v47, v54, s5, v47
	v_lshrrev_b32_e32 v54, 16, v48
	s_waitcnt vmcnt(2)
	v_mul_f16_sdwa v55, v54, v38 dst_sel:DWORD dst_unused:UNUSED_PAD src0_sel:DWORD src1_sel:WORD_1
	v_fma_f16 v90, v48, v38, -v55
	v_mul_f16_sdwa v48, v48, v38 dst_sel:DWORD dst_unused:UNUSED_PAD src0_sel:DWORD src1_sel:WORD_1
	v_fma_f16 v91, v54, v38, v48
	v_lshrrev_b32_e32 v48, 16, v51
	ds_read_b32 v89, v59 offset:3888
	ds_read_b32 v86, v59 offset:2592
	ds_read_b32 v81, v59
	v_mul_f16_sdwa v54, v48, v39 dst_sel:DWORD dst_unused:UNUSED_PAD src0_sel:DWORD src1_sel:WORD_1
	v_fma_f16 v92, v51, v39, -v54
	v_mul_f16_sdwa v51, v51, v39 dst_sel:DWORD dst_unused:UNUSED_PAD src0_sel:DWORD src1_sel:WORD_1
	v_fma_f16 v93, v48, v39, v51
	v_add_f16_e32 v48, v90, v92
	s_waitcnt lgkmcnt(2)
	v_fma_f16 v48, v48, -0.5, v89
	v_sub_f16_e32 v51, v91, v93
	v_fma_f16 v54, v51, s4, v48
	v_fma_f16 v55, v51, s5, v48
	v_lshrrev_b32_e32 v48, 16, v50
	s_waitcnt vmcnt(0)
	v_mul_f16_sdwa v51, v48, v44 dst_sel:DWORD dst_unused:UNUSED_PAD src0_sel:DWORD src1_sel:WORD_1
	v_fma_f16 v51, v50, v44, -v51
	v_mul_f16_sdwa v50, v50, v44 dst_sel:DWORD dst_unused:UNUSED_PAD src0_sel:DWORD src1_sel:WORD_1
	v_fma_f16 v48, v48, v44, v50
	v_lshrrev_b32_e32 v50, 16, v80
	v_mul_f16_sdwa v83, v50, v45 dst_sel:DWORD dst_unused:UNUSED_PAD src0_sel:DWORD src1_sel:WORD_1
	v_fma_f16 v85, v80, v45, -v83
	v_mul_f16_sdwa v80, v80, v45 dst_sel:DWORD dst_unused:UNUSED_PAD src0_sel:DWORD src1_sel:WORD_1
	v_fma_f16 v50, v50, v45, v80
	v_lshrrev_b32_e32 v80, 16, v49
	;; [unrolled: 5-line block ×3, first 2 shown]
	v_mul_f16_sdwa v80, v49, v43 dst_sel:DWORD dst_unused:UNUSED_PAD src0_sel:DWORD src1_sel:WORD_1
	v_fma_f16 v95, v57, v43, -v80
	v_mul_f16_sdwa v57, v57, v43 dst_sel:DWORD dst_unused:UNUSED_PAD src0_sel:DWORD src1_sel:WORD_1
	v_fma_f16 v57, v49, v43, v57
	s_waitcnt lgkmcnt(0)
	v_lshrrev_b32_e32 v49, 16, v81
	v_add_f16_e32 v80, v49, v48
	v_sub_f16_e32 v87, v48, v50
	v_add_f16_e32 v48, v48, v50
	v_fma_f16 v48, v48, -0.5, v49
	v_add_f16_e32 v49, v51, v85
	v_add_f16_e32 v80, v80, v50
	v_fma_f16 v50, v49, -0.5, v81
	v_add_f16_e32 v49, v81, v51
	v_sub_f16_e32 v51, v51, v85
	v_fma_f16 v81, v51, s5, v48
	v_fma_f16 v83, v51, s4, v48
	v_add_f16_e32 v48, v49, v85
	v_lshrrev_b32_e32 v85, 16, v82
	v_add_f16_e32 v51, v82, v53
	v_add_f16_e32 v82, v85, v56
	;; [unrolled: 1-line block ×4, first 2 shown]
	v_fma_f16 v52, v52, -0.5, v85
	v_sub_f16_e32 v53, v53, v84
	v_add_f16_e32 v51, v51, v84
	v_fma_f16 v84, v53, s5, v52
	v_fma_f16 v85, v53, s4, v52
	v_lshrrev_b32_e32 v52, 16, v86
	v_add_f16_e32 v53, v52, v94
	v_fma_f16 v49, v87, s4, v50
	v_fma_f16 v50, v87, s5, v50
	v_add_f16_e32 v87, v53, v57
	v_add_f16_e32 v53, v94, v57
	v_fma_f16 v52, v53, -0.5, v52
	v_add_f16_e32 v53, v88, v95
	v_sub_f16_e32 v56, v94, v57
	v_fma_f16 v57, v53, -0.5, v86
	v_add_f16_e32 v53, v86, v88
	v_sub_f16_e32 v88, v88, v95
	v_fma_f16 v86, v88, s5, v52
	v_fma_f16 v88, v88, s4, v52
	v_add_f16_e32 v52, v53, v95
	v_fma_f16 v53, v56, s4, v57
	v_fma_f16 v56, v56, s5, v57
	v_add_f16_e32 v57, v89, v90
	v_add_f16_e32 v57, v57, v92
	v_sub_f16_e32 v90, v90, v92
	v_pack_b32_f16 v92, v48, v80
	ds_write_b32 v59, v92
	v_pack_b32_f16 v92, v49, v81
	ds_write_b32 v59, v92 offset:5184
	v_pack_b32_f16 v92, v50, v83
	ds_write_b32 v59, v92 offset:10368
	v_pack_b32_f16 v92, v51, v82
	ds_write_b32 v59, v92 offset:1296
	v_pack_b32_f16 v92, v46, v84
	ds_write_b32 v59, v92 offset:6480
	v_pack_b32_f16 v92, v47, v85
	v_lshrrev_b32_e32 v94, 16, v89
	ds_write_b32 v59, v92 offset:11664
	v_pack_b32_f16 v92, v52, v87
	v_add_f16_e32 v89, v94, v91
	v_add_f16_e32 v91, v91, v93
	ds_write_b32 v59, v92 offset:2592
	v_pack_b32_f16 v92, v53, v86
	v_add_f16_e32 v89, v89, v93
	v_fma_f16 v93, v91, -0.5, v94
	ds_write_b32 v59, v92 offset:7776
	v_pack_b32_f16 v92, v56, v88
	v_fma_f16 v91, v90, s5, v93
	ds_write_b32 v59, v92 offset:12960
	v_pack_b32_f16 v92, v57, v89
	v_fma_f16 v90, v90, s4, v93
	ds_write_b32 v59, v92 offset:3888
	v_pack_b32_f16 v92, v54, v91
	ds_write_b32 v59, v92 offset:9072
	v_pack_b32_f16 v92, v55, v90
	ds_write_b32 v59, v92 offset:14256
	s_waitcnt lgkmcnt(0)
	s_barrier
	s_and_saveexec_b64 s[2:3], s[0:1]
	s_cbranch_execz .LBB0_9
; %bb.8:
	v_mov_b32_e32 v92, s7
	v_add_co_u32_e32 v98, vcc, s6, v58
	v_addc_co_u32_e32 v99, vcc, 0, v92, vcc
	v_add_co_u32_e32 v92, vcc, 0x3cc0, v98
	v_addc_co_u32_e32 v93, vcc, 0, v99, vcc
	;; [unrolled: 2-line block ×3, first 2 shown]
	global_load_dword v100, v[94:95], off offset:3264
	global_load_dword v101, v[92:93], off offset:972
	;; [unrolled: 1-line block ×4, first 2 shown]
	s_movk_i32 s4, 0x4000
	v_add_co_u32_e32 v94, vcc, s4, v98
	s_movk_i32 s5, 0x5000
	v_addc_co_u32_e32 v95, vcc, 0, v99, vcc
	v_add_co_u32_e32 v96, vcc, s5, v98
	v_addc_co_u32_e32 v97, vcc, 0, v99, vcc
	global_load_dword v104, v[94:95], off offset:4028
	global_load_dword v105, v[96:97], off offset:904
	;; [unrolled: 1-line block ×5, first 2 shown]
	ds_read_b32 v94, v59
	s_movk_i32 s4, 0x6000
	v_add_u32_e32 v108, 0x3c0, v58
	v_add_co_u32_e32 v92, vcc, s4, v98
	s_waitcnt lgkmcnt(0)
	v_lshrrev_b32_e32 v95, 16, v94
	v_addc_co_u32_e32 v93, vcc, 0, v99, vcc
	s_movk_i32 s5, 0x7000
	v_add_u32_e32 v109, 0x12e0, v58
	s_waitcnt vmcnt(8)
	v_mul_f16_sdwa v111, v95, v100 dst_sel:DWORD dst_unused:UNUSED_PAD src0_sel:DWORD src1_sel:WORD_1
	v_mul_f16_sdwa v112, v94, v100 dst_sel:DWORD dst_unused:UNUSED_PAD src0_sel:DWORD src1_sel:WORD_1
	v_fma_f16 v94, v94, v100, -v111
	v_fma_f16 v95, v95, v100, v112
	v_pack_b32_f16 v94, v94, v95
	ds_write_b32 v59, v94
	ds_read2_b32 v[94:95], v108 offset0:3 offset1:246
	global_load_dword v100, v[96:97], off offset:3820
	global_load_dword v111, v[92:93], off offset:696
	;; [unrolled: 1-line block ×4, first 2 shown]
	ds_read_b32 v96, v58 offset:2916
	s_waitcnt lgkmcnt(1)
	v_lshrrev_b32_e32 v97, 16, v94
	s_waitcnt vmcnt(11)
	v_mul_f16_sdwa v114, v94, v101 dst_sel:DWORD dst_unused:UNUSED_PAD src0_sel:DWORD src1_sel:WORD_1
	v_lshrrev_b32_e32 v115, 16, v95
	s_waitcnt vmcnt(10)
	v_mul_f16_sdwa v116, v95, v102 dst_sel:DWORD dst_unused:UNUSED_PAD src0_sel:DWORD src1_sel:WORD_1
	s_waitcnt lgkmcnt(0)
	v_lshrrev_b32_e32 v117, 16, v96
	v_mul_f16_sdwa v119, v97, v101 dst_sel:DWORD dst_unused:UNUSED_PAD src0_sel:DWORD src1_sel:WORD_1
	v_fma_f16 v97, v97, v101, v114
	v_mul_f16_sdwa v114, v115, v102 dst_sel:DWORD dst_unused:UNUSED_PAD src0_sel:DWORD src1_sel:WORD_1
	s_waitcnt vmcnt(9)
	v_mul_f16_sdwa v118, v96, v103 dst_sel:DWORD dst_unused:UNUSED_PAD src0_sel:DWORD src1_sel:WORD_1
	v_fma_f16 v115, v115, v102, v116
	v_mul_f16_sdwa v116, v117, v103 dst_sel:DWORD dst_unused:UNUSED_PAD src0_sel:DWORD src1_sel:WORD_1
	v_fma_f16 v94, v94, v101, -v119
	v_fma_f16 v95, v95, v102, -v114
	v_fma_f16 v117, v117, v103, v118
	v_fma_f16 v96, v96, v103, -v116
	v_pack_b32_f16 v94, v94, v97
	v_pack_b32_f16 v95, v95, v115
	;; [unrolled: 1-line block ×3, first 2 shown]
	ds_write2_b32 v108, v94, v95 offset0:3 offset1:246
	ds_write_b32 v58, v96 offset:2916
	ds_read_b32 v96, v59 offset:3888
	v_add_co_u32_e32 v94, vcc, s5, v98
	v_addc_co_u32_e32 v95, vcc, 0, v99, vcc
	s_waitcnt lgkmcnt(0)
	v_lshrrev_b32_e32 v97, 16, v96
	s_waitcnt vmcnt(5)
	v_mul_f16_sdwa v98, v96, v107 dst_sel:DWORD dst_unused:UNUSED_PAD src0_sel:DWORD src1_sel:WORD_1
	v_mul_f16_sdwa v99, v97, v107 dst_sel:DWORD dst_unused:UNUSED_PAD src0_sel:DWORD src1_sel:WORD_1
	v_fma_f16 v97, v97, v107, v98
	v_fma_f16 v96, v96, v107, -v99
	v_pack_b32_f16 v96, v96, v97
	ds_write_b32 v59, v96 offset:3888
	ds_read2_b32 v[96:97], v109 offset0:7 offset1:250
	global_load_dword v98, v[92:93], off offset:3612
	global_load_dword v99, v[94:95], off offset:488
	s_nop 0
	global_load_dword v94, v[94:95], off offset:1460
	ds_read_b32 v92, v58 offset:6804
	s_waitcnt lgkmcnt(1)
	v_lshrrev_b32_e32 v93, 16, v96
	v_mul_f16_sdwa v95, v96, v104 dst_sel:DWORD dst_unused:UNUSED_PAD src0_sel:DWORD src1_sel:WORD_1
	v_lshrrev_b32_e32 v101, 16, v97
	v_mul_f16_sdwa v102, v97, v105 dst_sel:DWORD dst_unused:UNUSED_PAD src0_sel:DWORD src1_sel:WORD_1
	s_waitcnt lgkmcnt(0)
	v_lshrrev_b32_e32 v103, 16, v92
	v_mul_f16_sdwa v108, v93, v104 dst_sel:DWORD dst_unused:UNUSED_PAD src0_sel:DWORD src1_sel:WORD_1
	v_fma_f16 v93, v93, v104, v95
	v_mul_f16_sdwa v95, v101, v105 dst_sel:DWORD dst_unused:UNUSED_PAD src0_sel:DWORD src1_sel:WORD_1
	v_mul_f16_sdwa v107, v92, v106 dst_sel:DWORD dst_unused:UNUSED_PAD src0_sel:DWORD src1_sel:WORD_1
	v_fma_f16 v101, v101, v105, v102
	v_mul_f16_sdwa v102, v103, v106 dst_sel:DWORD dst_unused:UNUSED_PAD src0_sel:DWORD src1_sel:WORD_1
	v_fma_f16 v96, v96, v104, -v108
	v_fma_f16 v95, v97, v105, -v95
	v_fma_f16 v103, v103, v106, v107
	v_fma_f16 v92, v92, v106, -v102
	v_pack_b32_f16 v93, v96, v93
	v_pack_b32_f16 v95, v95, v101
	;; [unrolled: 1-line block ×3, first 2 shown]
	ds_write2_b32 v109, v93, v95 offset0:7 offset1:250
	ds_write_b32 v58, v92 offset:6804
	ds_read_b32 v92, v59 offset:7776
	v_add_u32_e32 v95, 0x2200, v58
	s_waitcnt lgkmcnt(0)
	v_lshrrev_b32_e32 v93, 16, v92
	s_waitcnt vmcnt(7)
	v_mul_f16_sdwa v96, v92, v110 dst_sel:DWORD dst_unused:UNUSED_PAD src0_sel:DWORD src1_sel:WORD_1
	v_mul_f16_sdwa v97, v93, v110 dst_sel:DWORD dst_unused:UNUSED_PAD src0_sel:DWORD src1_sel:WORD_1
	v_fma_f16 v93, v93, v110, v96
	v_fma_f16 v92, v92, v110, -v97
	v_pack_b32_f16 v92, v92, v93
	ds_write_b32 v59, v92 offset:7776
	ds_read2_b32 v[92:93], v95 offset0:11 offset1:254
	ds_read_b32 v96, v58 offset:10692
	s_waitcnt lgkmcnt(1)
	v_lshrrev_b32_e32 v97, 16, v92
	v_lshrrev_b32_e32 v102, 16, v93
	s_waitcnt vmcnt(6)
	v_mul_f16_sdwa v101, v92, v100 dst_sel:DWORD dst_unused:UNUSED_PAD src0_sel:DWORD src1_sel:WORD_1
	s_waitcnt vmcnt(5)
	v_mul_f16_sdwa v103, v93, v111 dst_sel:DWORD dst_unused:UNUSED_PAD src0_sel:DWORD src1_sel:WORD_1
	v_mul_f16_sdwa v105, v97, v100 dst_sel:DWORD dst_unused:UNUSED_PAD src0_sel:DWORD src1_sel:WORD_1
	v_fma_f16 v97, v97, v100, v101
	v_mul_f16_sdwa v101, v102, v111 dst_sel:DWORD dst_unused:UNUSED_PAD src0_sel:DWORD src1_sel:WORD_1
	v_fma_f16 v102, v102, v111, v103
	v_fma_f16 v92, v92, v100, -v105
	v_fma_f16 v93, v93, v111, -v101
	s_waitcnt lgkmcnt(0)
	v_lshrrev_b32_e32 v104, 16, v96
	v_pack_b32_f16 v92, v92, v97
	v_pack_b32_f16 v93, v93, v102
	ds_write2_b32 v95, v92, v93 offset0:11 offset1:254
	s_waitcnt vmcnt(4)
	v_mul_f16_sdwa v92, v104, v112 dst_sel:DWORD dst_unused:UNUSED_PAD src0_sel:DWORD src1_sel:WORD_1
	v_mul_f16_sdwa v93, v96, v112 dst_sel:DWORD dst_unused:UNUSED_PAD src0_sel:DWORD src1_sel:WORD_1
	v_fma_f16 v92, v96, v112, -v92
	v_fma_f16 v93, v104, v112, v93
	v_pack_b32_f16 v92, v92, v93
	ds_write_b32 v58, v92 offset:10692
	ds_read_b32 v92, v59 offset:11664
	s_waitcnt lgkmcnt(0)
	v_lshrrev_b32_e32 v93, 16, v92
	s_waitcnt vmcnt(3)
	v_mul_f16_sdwa v95, v93, v113 dst_sel:DWORD dst_unused:UNUSED_PAD src0_sel:DWORD src1_sel:WORD_1
	v_fma_f16 v95, v92, v113, -v95
	v_mul_f16_sdwa v92, v92, v113 dst_sel:DWORD dst_unused:UNUSED_PAD src0_sel:DWORD src1_sel:WORD_1
	v_fma_f16 v92, v93, v113, v92
	v_pack_b32_f16 v92, v95, v92
	ds_write_b32 v59, v92 offset:11664
	v_add_u32_e32 v95, 0x3140, v58
	ds_read2_b32 v[92:93], v95 offset0:7 offset1:250
	s_waitcnt lgkmcnt(0)
	v_lshrrev_b32_e32 v96, 16, v92
	s_waitcnt vmcnt(2)
	v_mul_f16_sdwa v97, v96, v98 dst_sel:DWORD dst_unused:UNUSED_PAD src0_sel:DWORD src1_sel:WORD_1
	v_fma_f16 v97, v92, v98, -v97
	v_mul_f16_sdwa v92, v92, v98 dst_sel:DWORD dst_unused:UNUSED_PAD src0_sel:DWORD src1_sel:WORD_1
	v_fma_f16 v92, v96, v98, v92
	v_lshrrev_b32_e32 v96, 16, v93
	ds_read_b32 v98, v58 offset:14580
	v_pack_b32_f16 v92, v97, v92
	s_waitcnt vmcnt(1)
	v_mul_f16_sdwa v97, v96, v99 dst_sel:DWORD dst_unused:UNUSED_PAD src0_sel:DWORD src1_sel:WORD_1
	v_fma_f16 v97, v93, v99, -v97
	v_mul_f16_sdwa v93, v93, v99 dst_sel:DWORD dst_unused:UNUSED_PAD src0_sel:DWORD src1_sel:WORD_1
	v_fma_f16 v93, v96, v99, v93
	v_pack_b32_f16 v93, v97, v93
	ds_write2_b32 v95, v92, v93 offset0:7 offset1:250
	s_waitcnt lgkmcnt(1)
	v_lshrrev_b32_e32 v92, 16, v98
	s_waitcnt vmcnt(0)
	v_mul_f16_sdwa v93, v92, v94 dst_sel:DWORD dst_unused:UNUSED_PAD src0_sel:DWORD src1_sel:WORD_1
	v_mul_f16_sdwa v95, v98, v94 dst_sel:DWORD dst_unused:UNUSED_PAD src0_sel:DWORD src1_sel:WORD_1
	v_fma_f16 v93, v98, v94, -v93
	v_fma_f16 v92, v92, v94, v95
	v_pack_b32_f16 v92, v93, v92
	ds_write_b32 v58, v92 offset:14580
.LBB0_9:
	s_or_b64 exec, exec, s[2:3]
	v_lshrrev_b32_e32 v72, 16, v72
	s_waitcnt lgkmcnt(0)
	s_barrier
	s_and_saveexec_b64 s[2:3], s[0:1]
	s_cbranch_execz .LBB0_11
; %bb.10:
	v_add_u32_e32 v10, 0x780, v59
	ds_read2_b32 v[50:51], v10 offset0:6 offset1:249
	v_add_u32_e32 v10, 0xf00, v59
	ds_read2_b32 v[46:47], v10 offset0:12 offset1:255
	v_add_u32_e32 v10, 0x16c0, v59
	ds_read2_b32 v[52:53], v10 offset0:2 offset1:245
	v_add_u32_e32 v10, 0x1e40, v59
	ds_read2_b32 v[56:57], v10 offset0:8 offset1:251
	v_add_u32_e32 v10, 0x25e0, v59
	ds_read2_b32 v[54:55], v10 offset0:6 offset1:249
	v_add_u32_e32 v10, 0x2d80, v59
	v_add_u32_e32 v16, 0x3500, v59
	ds_read2_b32 v[48:49], v59 offset1:243
	ds_read2_b32 v[10:11], v10 offset0:4 offset1:247
	ds_read2_b32 v[16:17], v16 offset0:10 offset1:253
	s_waitcnt lgkmcnt(7)
	v_lshrrev_b32_e32 v83, 16, v50
	v_lshrrev_b32_e32 v82, 16, v51
	s_waitcnt lgkmcnt(2)
	v_lshrrev_b32_e32 v80, 16, v48
	v_lshrrev_b32_e32 v81, 16, v49
	;; [unrolled: 1-line block ×10, first 2 shown]
	s_waitcnt lgkmcnt(1)
	v_lshrrev_b32_e32 v72, 16, v10
	v_lshrrev_b32_e32 v65, 16, v11
	s_waitcnt lgkmcnt(0)
	v_lshrrev_b32_e32 v67, 16, v16
	v_lshrrev_b32_e32 v66, 16, v17
.LBB0_11:
	s_or_b64 exec, exec, s[2:3]
	s_barrier
	s_and_saveexec_b64 s[2:3], s[0:1]
	s_cbranch_execz .LBB0_13
; %bb.12:
	v_sub_f16_e32 v91, v83, v91
	v_sub_f16_e32 v67, v87, v67
	v_sub_f16_e32 v54, v50, v54
	v_sub_f16_e32 v56, v48, v56
	v_sub_f16_e32 v90, v82, v90
	v_sub_f16_e32 v89, v81, v89
	v_sub_f16_e32 v11, v47, v11
	v_sub_f16_e32 v66, v86, v66
	v_sub_f16_e32 v55, v51, v55
	v_sub_f16_e32 v57, v49, v57
	v_sub_f16_e32 v88, v80, v88
	v_sub_f16_e32 v10, v46, v10
	v_sub_f16_e32 v16, v52, v16
	v_add_f16_e32 v93, v67, v54
	v_sub_f16_e32 v72, v84, v72
	v_sub_f16_e32 v17, v53, v17
	;; [unrolled: 1-line block ×3, first 2 shown]
	v_add_f16_e32 v99, v66, v55
	v_sub_f16_e32 v65, v85, v65
	v_sub_f16_e32 v104, v88, v10
	v_fma_f16 v83, v83, 2.0, -v91
	v_fma_f16 v67, v87, 2.0, -v67
	v_fma_f16 v48, v48, 2.0, -v56
	v_fma_f16 v10, v46, 2.0, -v10
	v_fma_f16 v82, v82, 2.0, -v90
	v_fma_f16 v66, v86, 2.0, -v66
	v_fma_f16 v49, v49, 2.0, -v57
	v_fma_f16 v11, v47, 2.0, -v11
	v_sub_f16_e32 v92, v91, v16
	v_add_f16_e32 v94, v72, v56
	v_sub_f16_e32 v96, v90, v17
	v_add_f16_e32 v100, v65, v57
	v_sub_f16_e32 v67, v83, v67
	v_sub_f16_e32 v10, v48, v10
	v_fma_f16 v81, v81, 2.0, -v89
	v_fma_f16 v65, v85, 2.0, -v65
	;; [unrolled: 1-line block ×4, first 2 shown]
	v_sub_f16_e32 v66, v82, v66
	v_sub_f16_e32 v11, v49, v11
	v_fma_f16 v80, v80, 2.0, -v88
	v_fma_f16 v72, v84, 2.0, -v72
	;; [unrolled: 1-line block ×4, first 2 shown]
	s_movk_i32 s4, 0x39a8
	v_add_f16_e32 v46, v67, v10
	v_sub_f16_e32 v65, v81, v65
	v_sub_f16_e32 v17, v51, v17
	v_add_f16_e32 v47, v66, v11
	v_sub_f16_e32 v72, v80, v72
	v_sub_f16_e32 v16, v50, v16
	;; [unrolled: 1-line block ×3, first 2 shown]
	v_fma_f16 v85, v47, s4, v46
	v_sub_f16_e32 v52, v72, v16
	v_fma_f16 v95, v93, s4, v94
	s_mov_b32 s5, 0xb9a8
	v_fma_f16 v85, v53, s4, v85
	v_fma_f16 v84, v53, s4, v52
	v_fma_f16 v56, v56, 2.0, -v94
	v_fma_f16 v54, v54, 2.0, -v93
	;; [unrolled: 1-line block ×6, first 2 shown]
	v_fma_f16 v95, v92, s4, v95
	v_fma_f16 v101, v99, s4, v100
	v_fma_f16 v105, v92, s4, v104
	v_fma_f16 v86, v46, 2.0, -v85
	v_fma_f16 v84, v47, s5, v84
	v_fma_f16 v91, v91, 2.0, -v92
	v_fma_f16 v92, v54, s5, v56
	v_fma_f16 v89, v89, 2.0, -v97
	v_fma_f16 v90, v90, 2.0, -v96
	;; [unrolled: 1-line block ×4, first 2 shown]
	v_fma_f16 v47, v11, s5, v10
	v_fma_f16 v98, v96, s4, v97
	v_fma_f16 v101, v96, s4, v101
	s_movk_i32 s14, 0x3b64
	v_fma_f16 v105, v93, s5, v105
	v_fma_f16 v92, v91, s4, v92
	;; [unrolled: 1-line block ×3, first 2 shown]
	v_fma_f16 v55, v55, 2.0, -v99
	v_fma_f16 v57, v57, 2.0, -v100
	v_fma_f16 v91, v91, s5, v88
	v_fma_f16 v53, v46, s4, v47
	v_fma_f16 v47, v72, 2.0, -v52
	v_fma_f16 v98, v99, s5, v98
	v_fma_f16 v102, v101, s14, v95
	s_movk_i32 s15, 0x361f
	v_fma_f16 v93, v55, s5, v93
	v_fma_f16 v55, v55, s5, v57
	;; [unrolled: 1-line block ×7, first 2 shown]
	s_mov_b32 s17, 0xbb64
	v_fma_f16 v16, v50, 2.0, -v16
	v_fma_f16 v50, v81, 2.0, -v65
	;; [unrolled: 1-line block ×3, first 2 shown]
	v_fma_f16 v11, v11, s5, v46
	v_fma_f16 v103, v95, 2.0, -v102
	s_mov_b32 s16, 0xb61f
	v_fma_f16 v90, v55, s15, v92
	v_fma_f16 v91, v55, s17, v91
	v_sub_f16_e32 v16, v48, v16
	v_sub_f16_e32 v66, v50, v66
	v_fma_f16 v80, v80, 2.0, -v72
	v_fma_f16 v67, v83, 2.0, -v67
	;; [unrolled: 1-line block ×9, first 2 shown]
	v_fma_f16 v106, v98, s14, v105
	v_fma_f16 v87, v52, 2.0, -v84
	v_fma_f16 v99, v54, 2.0, -v91
	v_add_f16_e32 v81, v66, v16
	v_sub_f16_e32 v67, v80, v67
	v_sub_f16_e32 v17, v49, v17
	v_fma_f16 v98, v97, s16, v94
	v_fma_f16 v100, v104, 2.0, -v105
	v_fma_f16 v52, v89, 2.0, -v93
	v_fma_f16 v56, v55, s17, v47
	v_fma_f16 v54, v88, 2.0, -v54
	v_fma_f16 v82, v16, 2.0, -v81
	v_sub_f16_e32 v51, v67, v17
	v_fma_f16 v98, v95, s14, v98
	v_fma_f16 v95, v95, s16, v100
	;; [unrolled: 1-line block ×4, first 2 shown]
	v_fma_f16 v16, v48, 2.0, -v16
	v_fma_f16 v17, v49, 2.0, -v17
	;; [unrolled: 1-line block ×4, first 2 shown]
	v_fma_f16 v95, v97, s17, v95
	v_fma_f16 v52, v55, s16, v52
	v_sub_f16_e32 v17, v16, v17
	v_sub_f16_e32 v50, v48, v49
	v_fma_f16 v106, v101, s16, v106
	v_fma_f16 v90, v93, s14, v90
	v_fma_f16 v94, v94, 2.0, -v98
	v_fma_f16 v97, v100, 2.0, -v95
	v_fma_f16 v10, v10, 2.0, -v53
	v_fma_f16 v47, v47, 2.0, -v56
	v_fma_f16 v54, v54, 2.0, -v52
	v_fma_f16 v16, v16, 2.0, -v17
	v_fma_f16 v55, v48, 2.0, -v50
	v_fma_f16 v107, v105, 2.0, -v106
	v_fma_f16 v96, v92, 2.0, -v90
	v_fma_f16 v83, v67, 2.0, -v51
	v_lshlrev_b32_e32 v57, 2, v60
	v_pack_b32_f16 v49, v94, v97
	v_pack_b32_f16 v48, v10, v46
	;; [unrolled: 1-line block ×4, first 2 shown]
	ds_write_b128 v57, v[46:49]
	v_pack_b32_f16 v49, v103, v107
	v_pack_b32_f16 v48, v86, v87
	v_pack_b32_f16 v46, v82, v83
	v_pack_b32_f16 v47, v96, v99
	ds_write_b128 v57, v[46:49] offset:16
	v_pack_b32_f16 v49, v98, v95
	v_pack_b32_f16 v48, v53, v11
	v_pack_b32_f16 v46, v17, v50
	v_pack_b32_f16 v47, v56, v52
	ds_write_b128 v57, v[46:49] offset:32
	;; [unrolled: 5-line block ×3, first 2 shown]
.LBB0_13:
	s_or_b64 exec, exec, s[2:3]
	s_waitcnt lgkmcnt(0)
	s_barrier
	ds_read_b32 v10, v59
	ds_read_b32 v11, v59 offset:1296
	ds_read_b32 v16, v59 offset:2592
	;; [unrolled: 1-line block ×8, first 2 shown]
	s_waitcnt lgkmcnt(5)
	v_lshrrev_b32_e32 v52, 16, v17
	v_mul_f16_sdwa v83, v2, v52 dst_sel:DWORD dst_unused:UNUSED_PAD src0_sel:WORD_1 src1_sel:DWORD
	v_fma_f16 v83, v2, v17, v83
	v_mul_f16_sdwa v17, v2, v17 dst_sel:DWORD dst_unused:UNUSED_PAD src0_sel:WORD_1 src1_sel:DWORD
	s_waitcnt lgkmcnt(0)
	v_lshrrev_b32_e32 v56, 16, v51
	ds_read_b32 v53, v59 offset:11664
	ds_read_b32 v54, v59 offset:12960
	;; [unrolled: 1-line block ×3, first 2 shown]
	v_fma_f16 v2, v2, v52, -v17
	v_mul_f16_sdwa v17, v3, v56 dst_sel:DWORD dst_unused:UNUSED_PAD src0_sel:WORD_1 src1_sel:DWORD
	v_lshrrev_b32_e32 v60, 16, v46
	v_fma_f16 v17, v3, v51, v17
	v_mul_f16_sdwa v51, v3, v51 dst_sel:DWORD dst_unused:UNUSED_PAD src0_sel:WORD_1 src1_sel:DWORD
	v_fma_f16 v3, v3, v56, -v51
	v_mul_f16_sdwa v51, v4, v60 dst_sel:DWORD dst_unused:UNUSED_PAD src0_sel:WORD_1 src1_sel:DWORD
	s_waitcnt lgkmcnt(2)
	v_lshrrev_b32_e32 v65, 16, v53
	v_fma_f16 v51, v4, v46, v51
	v_mul_f16_sdwa v46, v4, v46 dst_sel:DWORD dst_unused:UNUSED_PAD src0_sel:WORD_1 src1_sel:DWORD
	v_lshrrev_b32_e32 v67, 16, v47
	v_fma_f16 v4, v4, v60, -v46
	v_mul_f16_sdwa v46, v5, v65 dst_sel:DWORD dst_unused:UNUSED_PAD src0_sel:WORD_1 src1_sel:DWORD
	v_mul_f16_sdwa v52, v5, v53 dst_sel:DWORD dst_unused:UNUSED_PAD src0_sel:WORD_1 src1_sel:DWORD
	v_fma_f16 v46, v5, v53, v46
	v_fma_f16 v5, v5, v65, -v52
	v_mul_f16_sdwa v52, v8, v67 dst_sel:DWORD dst_unused:UNUSED_PAD src0_sel:WORD_1 src1_sel:DWORD
	s_waitcnt lgkmcnt(1)
	v_lshrrev_b32_e32 v72, 16, v54
	v_fma_f16 v52, v8, v47, v52
	v_mul_f16_sdwa v47, v8, v47 dst_sel:DWORD dst_unused:UNUSED_PAD src0_sel:WORD_1 src1_sel:DWORD
	v_lshrrev_b32_e32 v81, 16, v48
	v_fma_f16 v8, v8, v67, -v47
	v_mul_f16_sdwa v47, v9, v72 dst_sel:DWORD dst_unused:UNUSED_PAD src0_sel:WORD_1 src1_sel:DWORD
	v_mul_f16_sdwa v53, v9, v54 dst_sel:DWORD dst_unused:UNUSED_PAD src0_sel:WORD_1 src1_sel:DWORD
	v_fma_f16 v47, v9, v54, v47
	v_fma_f16 v9, v9, v72, -v53
	v_mul_f16_sdwa v53, v6, v81 dst_sel:DWORD dst_unused:UNUSED_PAD src0_sel:WORD_1 src1_sel:DWORD
	s_waitcnt lgkmcnt(0)
	v_lshrrev_b32_e32 v82, 16, v55
	v_fma_f16 v53, v6, v48, v53
	v_mul_f16_sdwa v48, v6, v48 dst_sel:DWORD dst_unused:UNUSED_PAD src0_sel:WORD_1 src1_sel:DWORD
	v_fma_f16 v6, v6, v81, -v48
	v_mul_f16_sdwa v48, v7, v82 dst_sel:DWORD dst_unused:UNUSED_PAD src0_sel:WORD_1 src1_sel:DWORD
	v_fma_f16 v48, v7, v55, v48
	v_mul_f16_sdwa v54, v7, v55 dst_sel:DWORD dst_unused:UNUSED_PAD src0_sel:WORD_1 src1_sel:DWORD
	v_add_f16_e32 v55, v83, v17
	v_lshrrev_b32_e32 v50, 16, v10
	v_fma_f16 v7, v7, v82, -v54
	v_add_f16_e32 v54, v10, v83
	v_fma_f16 v10, v55, -0.5, v10
	v_sub_f16_e32 v55, v2, v3
	s_mov_b32 s2, 0xbaee
	s_movk_i32 s3, 0x3aee
	v_fma_f16 v56, v55, s2, v10
	v_fma_f16 v10, v55, s3, v10
	v_add_f16_e32 v55, v50, v2
	v_add_f16_e32 v2, v2, v3
	v_add_f16_e32 v55, v55, v3
	v_fma_f16 v2, v2, -0.5, v50
	v_sub_f16_e32 v3, v83, v17
	v_add_f16_e32 v50, v51, v46
	v_lshrrev_b32_e32 v57, 16, v11
	v_add_f16_e32 v54, v54, v17
	v_fma_f16 v17, v3, s3, v2
	v_fma_f16 v2, v3, s2, v2
	v_add_f16_e32 v3, v11, v51
	v_fma_f16 v11, v50, -0.5, v11
	v_sub_f16_e32 v50, v4, v5
	v_fma_f16 v60, v50, s2, v11
	v_fma_f16 v11, v50, s3, v11
	v_add_f16_e32 v50, v57, v4
	v_add_f16_e32 v4, v4, v5
	v_add_f16_e32 v50, v50, v5
	v_fma_f16 v4, v4, -0.5, v57
	v_sub_f16_e32 v5, v51, v46
	v_add_f16_e32 v51, v52, v47
	v_lshrrev_b32_e32 v66, 16, v16
	v_add_f16_e32 v3, v3, v46
	v_fma_f16 v46, v5, s3, v4
	v_fma_f16 v4, v5, s2, v4
	v_add_f16_e32 v5, v16, v52
	v_fma_f16 v16, v51, -0.5, v16
	v_sub_f16_e32 v51, v8, v9
	;; [unrolled: 15-line block ×3, first 2 shown]
	v_fma_f16 v65, v52, s2, v49
	v_fma_f16 v49, v52, s3, v49
	v_add_f16_e32 v52, v80, v6
	v_add_f16_e32 v6, v6, v7
	;; [unrolled: 1-line block ×3, first 2 shown]
	v_fma_f16 v6, v6, -0.5, v80
	v_sub_f16_e32 v7, v53, v48
	v_pack_b32_f16 v2, v10, v2
	v_add_f16_e32 v9, v9, v48
	v_fma_f16 v48, v7, s3, v6
	v_fma_f16 v6, v7, s2, v6
	s_barrier
	v_pack_b32_f16 v7, v54, v55
	v_pack_b32_f16 v17, v56, v17
	ds_write_b32 v61, v2 offset:128
	v_pack_b32_f16 v2, v3, v50
	v_pack_b32_f16 v3, v60, v46
	ds_write2_b32 v61, v7, v17 offset1:16
	ds_write2_b32 v62, v2, v3 offset1:16
	v_pack_b32_f16 v2, v11, v4
	ds_write_b32 v62, v2 offset:128
	v_pack_b32_f16 v2, v5, v51
	v_pack_b32_f16 v3, v57, v47
	ds_write2_b32 v63, v2, v3 offset1:16
	v_pack_b32_f16 v2, v16, v8
	ds_write_b32 v63, v2 offset:128
	v_pack_b32_f16 v2, v9, v52
	v_pack_b32_f16 v3, v65, v48
	ds_write2_b32 v64, v2, v3 offset1:16
	v_pack_b32_f16 v2, v49, v6
	ds_write_b32 v64, v2 offset:128
	s_waitcnt lgkmcnt(0)
	s_barrier
	ds_read_b32 v2, v59
	ds_read_b32 v3, v59 offset:1296
	ds_read_b32 v4, v59 offset:2592
	;; [unrolled: 1-line block ×8, first 2 shown]
	s_waitcnt lgkmcnt(5)
	v_lshrrev_b32_e32 v16, 16, v5
	v_mul_f16_sdwa v60, v12, v16 dst_sel:DWORD dst_unused:UNUSED_PAD src0_sel:WORD_1 src1_sel:DWORD
	v_fma_f16 v60, v12, v5, v60
	v_mul_f16_sdwa v5, v12, v5 dst_sel:DWORD dst_unused:UNUSED_PAD src0_sel:WORD_1 src1_sel:DWORD
	s_waitcnt lgkmcnt(0)
	v_lshrrev_b32_e32 v48, 16, v11
	ds_read_b32 v17, v59 offset:11664
	ds_read_b32 v46, v59 offset:12960
	;; [unrolled: 1-line block ×3, first 2 shown]
	v_fma_f16 v5, v12, v16, -v5
	v_mul_f16_sdwa v12, v13, v48 dst_sel:DWORD dst_unused:UNUSED_PAD src0_sel:WORD_1 src1_sel:DWORD
	v_lshrrev_b32_e32 v50, 16, v6
	v_fma_f16 v12, v13, v11, v12
	v_mul_f16_sdwa v11, v13, v11 dst_sel:DWORD dst_unused:UNUSED_PAD src0_sel:WORD_1 src1_sel:DWORD
	v_fma_f16 v11, v13, v48, -v11
	v_mul_f16_sdwa v13, v14, v50 dst_sel:DWORD dst_unused:UNUSED_PAD src0_sel:WORD_1 src1_sel:DWORD
	s_waitcnt lgkmcnt(2)
	v_lshrrev_b32_e32 v51, 16, v17
	v_fma_f16 v13, v14, v6, v13
	v_mul_f16_sdwa v6, v14, v6 dst_sel:DWORD dst_unused:UNUSED_PAD src0_sel:WORD_1 src1_sel:DWORD
	v_lshrrev_b32_e32 v53, 16, v7
	v_fma_f16 v6, v14, v50, -v6
	v_mul_f16_sdwa v14, v15, v51 dst_sel:DWORD dst_unused:UNUSED_PAD src0_sel:WORD_1 src1_sel:DWORD
	v_mul_f16_sdwa v16, v15, v17 dst_sel:DWORD dst_unused:UNUSED_PAD src0_sel:WORD_1 src1_sel:DWORD
	v_fma_f16 v14, v15, v17, v14
	v_fma_f16 v15, v15, v51, -v16
	v_mul_f16_sdwa v16, v18, v53 dst_sel:DWORD dst_unused:UNUSED_PAD src0_sel:WORD_1 src1_sel:DWORD
	s_waitcnt lgkmcnt(1)
	v_lshrrev_b32_e32 v54, 16, v46
	v_fma_f16 v16, v18, v7, v16
	v_mul_f16_sdwa v7, v18, v7 dst_sel:DWORD dst_unused:UNUSED_PAD src0_sel:WORD_1 src1_sel:DWORD
	v_lshrrev_b32_e32 v56, 16, v8
	v_fma_f16 v7, v18, v53, -v7
	v_mul_f16_sdwa v17, v19, v54 dst_sel:DWORD dst_unused:UNUSED_PAD src0_sel:WORD_1 src1_sel:DWORD
	v_mul_f16_sdwa v18, v19, v46 dst_sel:DWORD dst_unused:UNUSED_PAD src0_sel:WORD_1 src1_sel:DWORD
	v_fma_f16 v17, v19, v46, v17
	v_fma_f16 v18, v19, v54, -v18
	v_mul_f16_sdwa v19, v20, v56 dst_sel:DWORD dst_unused:UNUSED_PAD src0_sel:WORD_1 src1_sel:DWORD
	s_waitcnt lgkmcnt(0)
	v_lshrrev_b32_e32 v57, 16, v47
	v_fma_f16 v19, v20, v8, v19
	v_mul_f16_sdwa v8, v20, v8 dst_sel:DWORD dst_unused:UNUSED_PAD src0_sel:WORD_1 src1_sel:DWORD
	v_fma_f16 v8, v20, v56, -v8
	v_mul_f16_sdwa v20, v21, v57 dst_sel:DWORD dst_unused:UNUSED_PAD src0_sel:WORD_1 src1_sel:DWORD
	v_fma_f16 v20, v21, v47, v20
	v_mul_f16_sdwa v46, v21, v47 dst_sel:DWORD dst_unused:UNUSED_PAD src0_sel:WORD_1 src1_sel:DWORD
	v_add_f16_e32 v47, v60, v12
	v_lshrrev_b32_e32 v10, 16, v2
	v_fma_f16 v21, v21, v57, -v46
	v_add_f16_e32 v46, v2, v60
	v_fma_f16 v2, v47, -0.5, v2
	v_sub_f16_e32 v47, v5, v11
	v_fma_f16 v48, v47, s2, v2
	v_fma_f16 v2, v47, s3, v2
	v_add_f16_e32 v47, v10, v5
	v_add_f16_e32 v5, v5, v11
	v_add_f16_e32 v46, v46, v12
	v_fma_f16 v5, v5, -0.5, v10
	v_sub_f16_e32 v10, v60, v12
	v_add_f16_e32 v12, v13, v14
	v_lshrrev_b32_e32 v49, 16, v3
	v_add_f16_e32 v47, v47, v11
	v_fma_f16 v11, v10, s3, v5
	v_fma_f16 v5, v10, s2, v5
	v_add_f16_e32 v10, v3, v13
	v_fma_f16 v3, v12, -0.5, v3
	v_sub_f16_e32 v12, v6, v15
	v_fma_f16 v50, v12, s2, v3
	v_fma_f16 v3, v12, s3, v3
	v_add_f16_e32 v12, v49, v6
	v_add_f16_e32 v6, v6, v15
	v_add_f16_e32 v12, v12, v15
	v_fma_f16 v6, v6, -0.5, v49
	v_sub_f16_e32 v13, v13, v14
	v_add_f16_e32 v15, v16, v17
	v_lshrrev_b32_e32 v52, 16, v4
	v_add_f16_e32 v10, v10, v14
	v_fma_f16 v14, v13, s3, v6
	v_fma_f16 v6, v13, s2, v6
	;; [unrolled: 15-line block ×3, first 2 shown]
	v_add_f16_e32 v16, v9, v19
	v_fma_f16 v9, v18, -0.5, v9
	v_sub_f16_e32 v18, v8, v21
	v_fma_f16 v51, v18, s2, v9
	v_fma_f16 v9, v18, s3, v9
	v_add_f16_e32 v18, v55, v8
	v_add_f16_e32 v8, v8, v21
	v_fma_f16 v8, v8, -0.5, v55
	v_sub_f16_e32 v19, v19, v20
	v_pack_b32_f16 v2, v2, v5
	v_add_f16_e32 v16, v16, v20
	v_fma_f16 v20, v19, s3, v8
	v_fma_f16 v8, v19, s2, v8
	s_barrier
	v_pack_b32_f16 v19, v46, v47
	v_pack_b32_f16 v11, v48, v11
	ds_write_b32 v68, v2 offset:384
	v_pack_b32_f16 v2, v10, v12
	v_pack_b32_f16 v5, v50, v14
	ds_write2_b32 v68, v19, v11 offset1:48
	ds_write2_b32 v69, v2, v5 offset1:48
	v_pack_b32_f16 v2, v3, v6
	ds_write_b32 v69, v2 offset:384
	v_pack_b32_f16 v2, v13, v15
	v_pack_b32_f16 v3, v49, v17
	v_add_f16_e32 v18, v18, v21
	ds_write2_b32 v70, v2, v3 offset1:48
	v_pack_b32_f16 v2, v4, v7
	ds_write_b32 v70, v2 offset:384
	v_pack_b32_f16 v2, v16, v18
	v_pack_b32_f16 v3, v51, v20
	ds_write2_b32 v71, v2, v3 offset1:48
	v_pack_b32_f16 v2, v9, v8
	ds_write_b32 v71, v2 offset:384
	s_waitcnt lgkmcnt(0)
	s_barrier
	ds_read_b32 v2, v59
	ds_read_b32 v3, v59 offset:1296
	ds_read_b32 v4, v59 offset:2592
	;; [unrolled: 1-line block ×8, first 2 shown]
	s_waitcnt lgkmcnt(5)
	v_lshrrev_b32_e32 v12, 16, v5
	v_mul_f16_sdwa v50, v22, v12 dst_sel:DWORD dst_unused:UNUSED_PAD src0_sel:WORD_1 src1_sel:DWORD
	v_fma_f16 v50, v22, v5, v50
	v_mul_f16_sdwa v5, v22, v5 dst_sel:DWORD dst_unused:UNUSED_PAD src0_sel:WORD_1 src1_sel:DWORD
	s_waitcnt lgkmcnt(0)
	v_lshrrev_b32_e32 v16, 16, v11
	ds_read_b32 v13, v59 offset:11664
	ds_read_b32 v14, v59 offset:12960
	;; [unrolled: 1-line block ×3, first 2 shown]
	v_fma_f16 v5, v22, v12, -v5
	v_mul_f16_sdwa v12, v23, v16 dst_sel:DWORD dst_unused:UNUSED_PAD src0_sel:WORD_1 src1_sel:DWORD
	v_lshrrev_b32_e32 v18, 16, v6
	v_fma_f16 v12, v23, v11, v12
	v_mul_f16_sdwa v11, v23, v11 dst_sel:DWORD dst_unused:UNUSED_PAD src0_sel:WORD_1 src1_sel:DWORD
	v_fma_f16 v11, v23, v16, -v11
	v_mul_f16_sdwa v16, v24, v18 dst_sel:DWORD dst_unused:UNUSED_PAD src0_sel:WORD_1 src1_sel:DWORD
	s_waitcnt lgkmcnt(2)
	v_lshrrev_b32_e32 v19, 16, v13
	v_fma_f16 v16, v24, v6, v16
	v_mul_f16_sdwa v6, v24, v6 dst_sel:DWORD dst_unused:UNUSED_PAD src0_sel:WORD_1 src1_sel:DWORD
	v_fma_f16 v6, v24, v18, -v6
	v_mul_f16_sdwa v18, v25, v19 dst_sel:DWORD dst_unused:UNUSED_PAD src0_sel:WORD_1 src1_sel:DWORD
	v_lshrrev_b32_e32 v48, 16, v8
	v_fma_f16 v18, v25, v13, v18
	v_mul_f16_sdwa v13, v25, v13 dst_sel:DWORD dst_unused:UNUSED_PAD src0_sel:WORD_1 src1_sel:DWORD
	v_fma_f16 v13, v25, v19, -v13
	v_mul_f16_sdwa v22, v26, v48 dst_sel:DWORD dst_unused:UNUSED_PAD src0_sel:WORD_1 src1_sel:DWORD
	v_add_f16_e32 v25, v50, v12
	v_lshrrev_b32_e32 v10, 16, v2
	v_lshrrev_b32_e32 v21, 16, v7
	v_fma_f16 v22, v26, v8, v22
	v_mul_f16_sdwa v8, v26, v8 dst_sel:DWORD dst_unused:UNUSED_PAD src0_sel:WORD_1 src1_sel:DWORD
	v_add_f16_e32 v24, v2, v50
	v_fma_f16 v2, v25, -0.5, v2
	v_sub_f16_e32 v25, v5, v11
	s_waitcnt lgkmcnt(0)
	v_lshrrev_b32_e32 v49, 16, v15
	v_mul_f16_sdwa v19, v28, v21 dst_sel:DWORD dst_unused:UNUSED_PAD src0_sel:WORD_1 src1_sel:DWORD
	v_fma_f16 v8, v26, v48, -v8
	v_fma_f16 v26, v25, s2, v2
	v_fma_f16 v2, v25, s3, v2
	v_add_f16_e32 v25, v10, v5
	v_add_f16_e32 v5, v5, v11
	v_lshrrev_b32_e32 v46, 16, v14
	v_fma_f16 v19, v28, v7, v19
	v_mul_f16_sdwa v7, v28, v7 dst_sel:DWORD dst_unused:UNUSED_PAD src0_sel:WORD_1 src1_sel:DWORD
	v_mul_f16_sdwa v23, v27, v49 dst_sel:DWORD dst_unused:UNUSED_PAD src0_sel:WORD_1 src1_sel:DWORD
	v_add_f16_e32 v24, v24, v12
	v_fma_f16 v5, v5, -0.5, v10
	v_sub_f16_e32 v10, v50, v12
	v_add_f16_e32 v12, v16, v18
	v_lshrrev_b32_e32 v17, 16, v3
	v_fma_f16 v7, v28, v21, -v7
	v_mul_f16_sdwa v21, v29, v46 dst_sel:DWORD dst_unused:UNUSED_PAD src0_sel:WORD_1 src1_sel:DWORD
	v_fma_f16 v23, v27, v15, v23
	v_mul_f16_sdwa v15, v27, v15 dst_sel:DWORD dst_unused:UNUSED_PAD src0_sel:WORD_1 src1_sel:DWORD
	v_add_f16_e32 v25, v25, v11
	v_fma_f16 v11, v10, s3, v5
	v_fma_f16 v5, v10, s2, v5
	v_add_f16_e32 v10, v3, v16
	v_fma_f16 v3, v12, -0.5, v3
	v_sub_f16_e32 v12, v6, v13
	v_fma_f16 v21, v29, v14, v21
	v_mul_f16_sdwa v14, v29, v14 dst_sel:DWORD dst_unused:UNUSED_PAD src0_sel:WORD_1 src1_sel:DWORD
	v_fma_f16 v15, v27, v49, -v15
	v_fma_f16 v27, v12, s2, v3
	v_fma_f16 v3, v12, s3, v3
	v_add_f16_e32 v12, v17, v6
	v_add_f16_e32 v6, v6, v13
	v_fma_f16 v14, v29, v46, -v14
	v_add_f16_e32 v12, v12, v13
	v_fma_f16 v6, v6, -0.5, v17
	v_sub_f16_e32 v13, v16, v18
	v_add_f16_e32 v17, v19, v21
	v_lshrrev_b32_e32 v20, 16, v4
	v_fma_f16 v16, v13, s3, v6
	v_fma_f16 v6, v13, s2, v6
	v_add_f16_e32 v13, v4, v19
	v_fma_f16 v4, v17, -0.5, v4
	v_sub_f16_e32 v17, v7, v14
	v_add_f16_e32 v10, v10, v18
	v_fma_f16 v18, v17, s2, v4
	v_fma_f16 v4, v17, s3, v4
	v_add_f16_e32 v17, v20, v7
	v_add_f16_e32 v7, v7, v14
	;; [unrolled: 1-line block ×3, first 2 shown]
	v_fma_f16 v7, v7, -0.5, v20
	v_sub_f16_e32 v14, v19, v21
	v_add_f16_e32 v20, v22, v23
	v_lshrrev_b32_e32 v47, 16, v9
	v_fma_f16 v19, v14, s3, v7
	v_fma_f16 v7, v14, s2, v7
	v_add_f16_e32 v14, v9, v22
	v_fma_f16 v9, v20, -0.5, v9
	v_sub_f16_e32 v20, v8, v15
	v_add_f16_e32 v13, v13, v21
	v_fma_f16 v21, v20, s2, v9
	v_fma_f16 v9, v20, s3, v9
	v_add_f16_e32 v20, v47, v8
	v_add_f16_e32 v8, v8, v15
	;; [unrolled: 1-line block ×3, first 2 shown]
	v_fma_f16 v8, v8, -0.5, v47
	v_sub_f16_e32 v15, v22, v23
	v_pack_b32_f16 v2, v2, v5
	v_fma_f16 v22, v15, s3, v8
	v_fma_f16 v8, v15, s2, v8
	s_barrier
	v_pack_b32_f16 v15, v24, v25
	v_pack_b32_f16 v11, v26, v11
	ds_write_b32 v73, v2 offset:1152
	v_pack_b32_f16 v2, v10, v12
	v_pack_b32_f16 v5, v27, v16
	ds_write2_b32 v73, v15, v11 offset1:144
	ds_write2_b32 v74, v2, v5 offset1:144
	v_pack_b32_f16 v2, v3, v6
	ds_write_b32 v74, v2 offset:1152
	v_pack_b32_f16 v2, v13, v17
	v_pack_b32_f16 v3, v18, v19
	v_add_f16_e32 v14, v14, v23
	ds_write2_b32 v75, v2, v3 offset1:144
	v_pack_b32_f16 v2, v4, v7
	ds_write_b32 v75, v2 offset:1152
	v_pack_b32_f16 v2, v14, v20
	v_pack_b32_f16 v3, v21, v22
	ds_write2_b32 v76, v2, v3 offset1:144
	v_pack_b32_f16 v2, v9, v8
	ds_write_b32 v76, v2 offset:1152
	s_waitcnt lgkmcnt(0)
	s_barrier
	ds_read_b32 v2, v59
	ds_read_b32 v3, v59 offset:1296
	ds_read_b32 v4, v59 offset:2592
	;; [unrolled: 1-line block ×8, first 2 shown]
	s_waitcnt lgkmcnt(5)
	v_lshrrev_b32_e32 v12, 16, v5
	v_mul_f16_sdwa v26, v30, v12 dst_sel:DWORD dst_unused:UNUSED_PAD src0_sel:WORD_1 src1_sel:DWORD
	v_fma_f16 v26, v30, v5, v26
	v_mul_f16_sdwa v5, v30, v5 dst_sel:DWORD dst_unused:UNUSED_PAD src0_sel:WORD_1 src1_sel:DWORD
	s_waitcnt lgkmcnt(0)
	v_lshrrev_b32_e32 v16, 16, v11
	ds_read_b32 v13, v59 offset:11664
	ds_read_b32 v14, v59 offset:12960
	;; [unrolled: 1-line block ×3, first 2 shown]
	v_fma_f16 v5, v30, v12, -v5
	v_mul_f16_sdwa v12, v31, v16 dst_sel:DWORD dst_unused:UNUSED_PAD src0_sel:WORD_1 src1_sel:DWORD
	v_lshrrev_b32_e32 v18, 16, v6
	v_fma_f16 v12, v31, v11, v12
	v_mul_f16_sdwa v11, v31, v11 dst_sel:DWORD dst_unused:UNUSED_PAD src0_sel:WORD_1 src1_sel:DWORD
	v_fma_f16 v11, v31, v16, -v11
	v_mul_f16_sdwa v16, v32, v18 dst_sel:DWORD dst_unused:UNUSED_PAD src0_sel:WORD_1 src1_sel:DWORD
	s_waitcnt lgkmcnt(2)
	v_lshrrev_b32_e32 v19, 16, v13
	v_fma_f16 v16, v32, v6, v16
	v_mul_f16_sdwa v6, v32, v6 dst_sel:DWORD dst_unused:UNUSED_PAD src0_sel:WORD_1 src1_sel:DWORD
	v_fma_f16 v6, v32, v18, -v6
	v_mul_f16_sdwa v18, v33, v19 dst_sel:DWORD dst_unused:UNUSED_PAD src0_sel:WORD_1 src1_sel:DWORD
	v_lshrrev_b32_e32 v21, 16, v7
	v_fma_f16 v18, v33, v13, v18
	v_mul_f16_sdwa v13, v33, v13 dst_sel:DWORD dst_unused:UNUSED_PAD src0_sel:WORD_1 src1_sel:DWORD
	v_fma_f16 v13, v33, v19, -v13
	v_mul_f16_sdwa v19, v34, v21 dst_sel:DWORD dst_unused:UNUSED_PAD src0_sel:WORD_1 src1_sel:DWORD
	s_waitcnt lgkmcnt(1)
	v_lshrrev_b32_e32 v22, 16, v14
	v_fma_f16 v19, v34, v7, v19
	v_mul_f16_sdwa v7, v34, v7 dst_sel:DWORD dst_unused:UNUSED_PAD src0_sel:WORD_1 src1_sel:DWORD
	;; [unrolled: 11-line block ×3, first 2 shown]
	v_fma_f16 v8, v36, v24, -v8
	v_mul_f16_sdwa v24, v37, v25 dst_sel:DWORD dst_unused:UNUSED_PAD src0_sel:WORD_1 src1_sel:DWORD
	v_fma_f16 v24, v37, v15, v24
	v_mul_f16_sdwa v15, v37, v15 dst_sel:DWORD dst_unused:UNUSED_PAD src0_sel:WORD_1 src1_sel:DWORD
	v_add_f16_e32 v27, v26, v12
	v_lshrrev_b32_e32 v10, 16, v2
	v_fma_f16 v15, v37, v25, -v15
	v_add_f16_e32 v25, v2, v26
	v_fma_f16 v2, v27, -0.5, v2
	v_sub_f16_e32 v27, v5, v11
	v_fma_f16 v28, v27, s2, v2
	v_fma_f16 v2, v27, s3, v2
	v_add_f16_e32 v27, v10, v5
	v_add_f16_e32 v5, v5, v11
	;; [unrolled: 1-line block ×3, first 2 shown]
	v_fma_f16 v5, v5, -0.5, v10
	v_sub_f16_e32 v10, v26, v12
	v_add_f16_e32 v12, v16, v18
	v_lshrrev_b32_e32 v17, 16, v3
	v_add_f16_e32 v27, v27, v11
	v_fma_f16 v11, v10, s3, v5
	v_fma_f16 v5, v10, s2, v5
	v_add_f16_e32 v10, v3, v16
	v_fma_f16 v3, v12, -0.5, v3
	v_sub_f16_e32 v12, v6, v13
	v_fma_f16 v26, v12, s2, v3
	v_fma_f16 v3, v12, s3, v3
	v_add_f16_e32 v12, v17, v6
	v_add_f16_e32 v6, v6, v13
	;; [unrolled: 1-line block ×3, first 2 shown]
	v_fma_f16 v6, v6, -0.5, v17
	v_sub_f16_e32 v13, v16, v18
	v_add_f16_e32 v17, v19, v21
	v_lshrrev_b32_e32 v20, 16, v4
	v_fma_f16 v16, v13, s3, v6
	v_fma_f16 v6, v13, s2, v6
	v_add_f16_e32 v13, v4, v19
	v_fma_f16 v4, v17, -0.5, v4
	v_sub_f16_e32 v17, v7, v14
	v_add_f16_e32 v10, v10, v18
	v_fma_f16 v18, v17, s2, v4
	v_fma_f16 v4, v17, s3, v4
	v_add_f16_e32 v17, v20, v7
	v_add_f16_e32 v7, v7, v14
	;; [unrolled: 1-line block ×3, first 2 shown]
	v_fma_f16 v7, v7, -0.5, v20
	v_sub_f16_e32 v14, v19, v21
	v_add_f16_e32 v20, v22, v24
	v_lshrrev_b32_e32 v23, 16, v9
	v_fma_f16 v19, v14, s3, v7
	v_fma_f16 v7, v14, s2, v7
	v_add_f16_e32 v14, v9, v22
	v_fma_f16 v9, v20, -0.5, v9
	v_sub_f16_e32 v20, v8, v15
	v_add_f16_e32 v13, v13, v21
	v_fma_f16 v21, v20, s2, v9
	v_fma_f16 v9, v20, s3, v9
	v_add_f16_e32 v20, v23, v8
	v_add_f16_e32 v8, v8, v15
	;; [unrolled: 1-line block ×3, first 2 shown]
	v_fma_f16 v8, v8, -0.5, v23
	v_sub_f16_e32 v15, v22, v24
	v_pack_b32_f16 v2, v2, v5
	v_fma_f16 v22, v15, s3, v8
	v_fma_f16 v8, v15, s2, v8
	s_barrier
	v_pack_b32_f16 v15, v25, v27
	v_pack_b32_f16 v11, v28, v11
	ds_write_b32 v59, v2 offset:3456
	v_pack_b32_f16 v2, v10, v12
	ds_write_b32 v59, v15
	ds_write_b32 v59, v11 offset:1728
	ds_write_b32 v77, v2
	v_pack_b32_f16 v2, v26, v16
	ds_write_b32 v77, v2 offset:1728
	v_pack_b32_f16 v2, v3, v6
	ds_write_b32 v77, v2 offset:3456
	v_pack_b32_f16 v2, v13, v17
	ds_write_b32 v78, v2
	v_pack_b32_f16 v2, v18, v19
	v_add_f16_e32 v14, v14, v24
	ds_write_b32 v78, v2 offset:1728
	v_pack_b32_f16 v2, v4, v7
	ds_write_b32 v78, v2 offset:3456
	v_pack_b32_f16 v2, v14, v20
	;; [unrolled: 2-line block ×4, first 2 shown]
	ds_write_b32 v79, v2 offset:13824
	s_waitcnt lgkmcnt(0)
	s_barrier
	ds_read_b32 v2, v59
	ds_read_b32 v3, v59 offset:1296
	ds_read_b32 v4, v59 offset:2592
	;; [unrolled: 1-line block ×8, first 2 shown]
	s_waitcnt lgkmcnt(5)
	v_lshrrev_b32_e32 v12, 16, v5
	v_mul_f16_sdwa v26, v44, v12 dst_sel:DWORD dst_unused:UNUSED_PAD src0_sel:WORD_1 src1_sel:DWORD
	v_fma_f16 v26, v44, v5, v26
	v_mul_f16_sdwa v5, v44, v5 dst_sel:DWORD dst_unused:UNUSED_PAD src0_sel:WORD_1 src1_sel:DWORD
	s_waitcnt lgkmcnt(0)
	v_lshrrev_b32_e32 v16, 16, v11
	ds_read_b32 v13, v59 offset:11664
	ds_read_b32 v14, v59 offset:12960
	;; [unrolled: 1-line block ×3, first 2 shown]
	v_fma_f16 v5, v44, v12, -v5
	v_mul_f16_sdwa v12, v45, v16 dst_sel:DWORD dst_unused:UNUSED_PAD src0_sel:WORD_1 src1_sel:DWORD
	v_lshrrev_b32_e32 v18, 16, v6
	v_fma_f16 v12, v45, v11, v12
	v_mul_f16_sdwa v11, v45, v11 dst_sel:DWORD dst_unused:UNUSED_PAD src0_sel:WORD_1 src1_sel:DWORD
	v_fma_f16 v11, v45, v16, -v11
	v_mul_f16_sdwa v16, v40, v18 dst_sel:DWORD dst_unused:UNUSED_PAD src0_sel:WORD_1 src1_sel:DWORD
	s_waitcnt lgkmcnt(2)
	v_lshrrev_b32_e32 v19, 16, v13
	v_fma_f16 v16, v40, v6, v16
	v_mul_f16_sdwa v6, v40, v6 dst_sel:DWORD dst_unused:UNUSED_PAD src0_sel:WORD_1 src1_sel:DWORD
	v_fma_f16 v6, v40, v18, -v6
	v_mul_f16_sdwa v18, v41, v19 dst_sel:DWORD dst_unused:UNUSED_PAD src0_sel:WORD_1 src1_sel:DWORD
	v_lshrrev_b32_e32 v21, 16, v7
	v_fma_f16 v18, v41, v13, v18
	v_mul_f16_sdwa v13, v41, v13 dst_sel:DWORD dst_unused:UNUSED_PAD src0_sel:WORD_1 src1_sel:DWORD
	v_fma_f16 v13, v41, v19, -v13
	v_mul_f16_sdwa v19, v42, v21 dst_sel:DWORD dst_unused:UNUSED_PAD src0_sel:WORD_1 src1_sel:DWORD
	s_waitcnt lgkmcnt(1)
	v_lshrrev_b32_e32 v22, 16, v14
	v_fma_f16 v19, v42, v7, v19
	v_mul_f16_sdwa v7, v42, v7 dst_sel:DWORD dst_unused:UNUSED_PAD src0_sel:WORD_1 src1_sel:DWORD
	;; [unrolled: 11-line block ×3, first 2 shown]
	v_fma_f16 v8, v38, v24, -v8
	v_mul_f16_sdwa v24, v39, v25 dst_sel:DWORD dst_unused:UNUSED_PAD src0_sel:WORD_1 src1_sel:DWORD
	v_fma_f16 v24, v39, v15, v24
	v_mul_f16_sdwa v15, v39, v15 dst_sel:DWORD dst_unused:UNUSED_PAD src0_sel:WORD_1 src1_sel:DWORD
	v_add_f16_e32 v27, v26, v12
	v_lshrrev_b32_e32 v10, 16, v2
	v_fma_f16 v15, v39, v25, -v15
	v_add_f16_e32 v25, v2, v26
	v_fma_f16 v2, v27, -0.5, v2
	v_sub_f16_e32 v27, v5, v11
	v_fma_f16 v28, v27, s2, v2
	v_fma_f16 v2, v27, s3, v2
	v_add_f16_e32 v27, v10, v5
	v_add_f16_e32 v5, v5, v11
	;; [unrolled: 1-line block ×3, first 2 shown]
	v_fma_f16 v5, v5, -0.5, v10
	v_sub_f16_e32 v10, v26, v12
	v_add_f16_e32 v12, v16, v18
	v_lshrrev_b32_e32 v17, 16, v3
	v_add_f16_e32 v27, v27, v11
	v_fma_f16 v11, v10, s3, v5
	v_fma_f16 v5, v10, s2, v5
	v_add_f16_e32 v10, v3, v16
	v_fma_f16 v3, v12, -0.5, v3
	v_sub_f16_e32 v12, v6, v13
	v_fma_f16 v26, v12, s2, v3
	v_fma_f16 v3, v12, s3, v3
	v_add_f16_e32 v12, v17, v6
	v_add_f16_e32 v6, v6, v13
	;; [unrolled: 1-line block ×4, first 2 shown]
	v_fma_f16 v6, v6, -0.5, v17
	v_sub_f16_e32 v13, v16, v18
	v_add_f16_e32 v17, v19, v21
	v_pack_b32_f16 v2, v2, v5
	v_lshrrev_b32_e32 v20, 16, v4
	v_fma_f16 v16, v13, s3, v6
	v_fma_f16 v6, v13, s2, v6
	v_add_f16_e32 v13, v4, v19
	v_fma_f16 v4, v17, -0.5, v4
	v_sub_f16_e32 v17, v7, v14
	ds_write_b32 v59, v2 offset:10368
	v_pack_b32_f16 v2, v10, v12
	v_fma_f16 v18, v17, s2, v4
	v_fma_f16 v4, v17, s3, v4
	v_add_f16_e32 v17, v20, v7
	v_add_f16_e32 v7, v7, v14
	ds_write_b32 v59, v2 offset:1296
	v_pack_b32_f16 v2, v26, v16
	v_add_f16_e32 v13, v13, v21
	v_add_f16_e32 v17, v17, v14
	v_fma_f16 v7, v7, -0.5, v20
	v_sub_f16_e32 v14, v19, v21
	v_add_f16_e32 v20, v22, v24
	ds_write_b32 v59, v2 offset:6480
	v_pack_b32_f16 v2, v3, v6
	v_lshrrev_b32_e32 v23, 16, v9
	v_fma_f16 v19, v14, s3, v7
	v_fma_f16 v7, v14, s2, v7
	v_add_f16_e32 v14, v9, v22
	v_fma_f16 v9, v20, -0.5, v9
	v_sub_f16_e32 v20, v8, v15
	ds_write_b32 v59, v2 offset:11664
	v_pack_b32_f16 v2, v13, v17
	v_fma_f16 v21, v20, s2, v9
	v_fma_f16 v9, v20, s3, v9
	v_add_f16_e32 v20, v23, v8
	v_add_f16_e32 v8, v8, v15
	ds_write_b32 v59, v2 offset:2592
	v_pack_b32_f16 v2, v18, v19
	v_add_f16_e32 v14, v14, v24
	v_add_f16_e32 v20, v20, v15
	v_fma_f16 v8, v8, -0.5, v23
	v_sub_f16_e32 v15, v22, v24
	ds_write_b32 v59, v2 offset:7776
	v_pack_b32_f16 v2, v4, v7
	v_fma_f16 v22, v15, s3, v8
	ds_write_b32 v59, v2 offset:12960
	v_pack_b32_f16 v2, v14, v20
	v_fma_f16 v8, v15, s2, v8
	ds_write_b32 v59, v2 offset:3888
	v_pack_b32_f16 v2, v21, v22
	v_pack_b32_f16 v15, v25, v27
	;; [unrolled: 1-line block ×3, first 2 shown]
	ds_write_b32 v59, v2 offset:9072
	v_pack_b32_f16 v2, v9, v8
	ds_write_b32 v59, v15
	ds_write_b32 v59, v11 offset:5184
	ds_write_b32 v59, v2 offset:14256
	s_waitcnt lgkmcnt(0)
	s_barrier
	s_and_b64 exec, exec, s[0:1]
	s_cbranch_execz .LBB0_15
; %bb.14:
	global_load_dword v11, v58, s[6:7]
	global_load_dword v8, v58, s[6:7] offset:972
	global_load_dword v9, v58, s[6:7] offset:1944
	;; [unrolled: 1-line block ×3, first 2 shown]
	ds_read_b32 v12, v58 offset:2916
	ds_read_b32 v13, v58 offset:6804
	;; [unrolled: 1-line block ×3, first 2 shown]
	ds_read_b32 v19, v59
	ds_read_b32 v18, v59 offset:3888
	ds_read_b32 v17, v59 offset:7776
	;; [unrolled: 1-line block ×4, first 2 shown]
	s_waitcnt lgkmcnt(4)
	v_lshrrev_b32_e32 v20, 16, v19
	s_mov_b32 s14, 0xa88f4696
	s_mov_b32 s15, 0x3f30db20
	v_mad_u64_u32 v[2:3], s[0:1], s10, v1, 0
	v_mad_u64_u32 v[4:5], s[0:1], s8, v0, 0
	v_mov_b32_e32 v7, s7
	s_movk_i32 s10, 0x1ff
	v_mad_u64_u32 v[23:24], s[0:1], s11, v1, v[3:4]
	s_movk_i32 s16, 0xffe
	v_add_u32_e32 v25, 0x3c0, v58
	v_mov_b32_e32 v3, v23
	v_mov_b32_e32 v6, 0x7c00
	ds_read2_b32 v[24:25], v25 offset0:3 offset1:246
	s_movk_i32 s17, 0x40f
	s_mov_b32 s18, 0x8000
	s_movk_i32 s19, 0x1000
	s_waitcnt vmcnt(3)
	v_mul_f16_sdwa v21, v20, v11 dst_sel:DWORD dst_unused:UNUSED_PAD src0_sel:DWORD src1_sel:WORD_1
	v_mul_f16_sdwa v22, v19, v11 dst_sel:DWORD dst_unused:UNUSED_PAD src0_sel:DWORD src1_sel:WORD_1
	v_fma_f16 v19, v19, v11, v21
	v_fma_f16 v11, v11, v20, -v22
	v_cvt_f32_f16_e32 v19, v19
	v_cvt_f32_f16_e32 v11, v11
	v_cvt_f64_f32_e32 v[19:20], v19
	v_cvt_f64_f32_e32 v[21:22], v11
	v_add_co_u32_e32 v11, vcc, s6, v58
	v_mul_f64 v[19:20], v[19:20], s[14:15]
	v_mul_f64 v[21:22], v[21:22], s[14:15]
	v_addc_co_u32_e32 v7, vcc, 0, v7, vcc
	v_and_or_b32 v1, v20, s10, v19
	v_and_or_b32 v21, v22, s10, v21
	v_cmp_ne_u32_e32 vcc, 0, v1
	v_lshrrev_b32_e32 v19, 8, v20
	v_bfe_u32 v23, v20, 20, 11
	v_cndmask_b32_e64 v1, 0, 1, vcc
	v_cmp_ne_u32_e32 vcc, 0, v21
	v_lshrrev_b32_e32 v26, 8, v22
	v_bfe_u32 v27, v22, 20, 11
	v_sub_u32_e32 v28, 0x3f1, v23
	v_cndmask_b32_e64 v21, 0, 1, vcc
	v_and_or_b32 v1, v19, s16, v1
	v_sub_u32_e32 v29, 0x3f1, v27
	v_med3_i32 v19, v28, 0, 13
	v_and_or_b32 v21, v26, s16, v21
	v_or_b32_e32 v28, 0x1000, v1
	v_add_u32_e32 v23, 0xfffffc10, v23
	v_med3_i32 v26, v29, 0, 13
	v_cmp_ne_u32_e32 vcc, 0, v1
	v_or_b32_e32 v30, 0x1000, v21
	v_lshrrev_b32_e32 v32, v19, v28
	v_add_u32_e32 v27, 0xfffffc10, v27
	v_lshl_or_b32 v29, v23, 12, v1
	v_cndmask_b32_e64 v1, 0, 1, vcc
	v_cmp_ne_u32_e32 vcc, 0, v21
	v_lshrrev_b32_e32 v33, v26, v30
	v_lshlrev_b32_e32 v19, v19, v32
	v_lshl_or_b32 v31, v27, 12, v21
	v_cndmask_b32_e64 v21, 0, 1, vcc
	v_lshlrev_b32_e32 v26, v26, v33
	v_cmp_ne_u32_e32 vcc, v19, v28
	v_cndmask_b32_e64 v19, 0, 1, vcc
	v_cmp_ne_u32_e32 vcc, v26, v30
	v_cndmask_b32_e64 v26, 0, 1, vcc
	v_or_b32_e32 v19, v32, v19
	v_cmp_gt_i32_e32 vcc, 1, v23
	v_cndmask_b32_e32 v19, v29, v19, vcc
	v_or_b32_e32 v26, v33, v26
	v_cmp_gt_i32_e32 vcc, 1, v27
	v_and_b32_e32 v28, 7, v19
	v_cndmask_b32_e32 v26, v31, v26, vcc
	v_cmp_lt_i32_e32 vcc, 5, v28
	v_cmp_eq_u32_e64 s[0:1], 3, v28
	v_lshrrev_b32_e32 v19, 2, v19
	v_and_b32_e32 v29, 7, v26
	s_or_b64 vcc, s[0:1], vcc
	v_cmp_lt_i32_e64 s[2:3], 5, v29
	v_cmp_eq_u32_e64 s[4:5], 3, v29
	v_addc_co_u32_e32 v19, vcc, 0, v19, vcc
	v_lshrrev_b32_e32 v26, 2, v26
	s_or_b64 vcc, s[4:5], s[2:3]
	v_addc_co_u32_e32 v26, vcc, 0, v26, vcc
	v_cmp_gt_i32_e32 vcc, 31, v23
	v_cndmask_b32_e32 v19, v6, v19, vcc
	v_cmp_gt_i32_e32 vcc, 31, v27
	v_lshl_or_b32 v1, v1, 9, v6
	v_cndmask_b32_e32 v26, v6, v26, vcc
	v_cmp_eq_u32_e32 vcc, s17, v23
	v_lshrrev_b32_e32 v20, 16, v20
	v_cndmask_b32_e32 v1, v19, v1, vcc
	v_lshl_or_b32 v21, v21, 9, v6
	v_cmp_eq_u32_e32 vcc, s17, v27
	v_and_or_b32 v20, v20, s18, v1
	v_mov_b32_e32 v1, v5
	v_cndmask_b32_e32 v19, v26, v21, vcc
	v_mad_u64_u32 v[0:1], s[0:1], s9, v0, v[1:2]
	s_waitcnt lgkmcnt(0)
	v_lshrrev_b32_e32 v21, 16, v24
	s_waitcnt vmcnt(2)
	v_mul_f16_sdwa v1, v21, v8 dst_sel:DWORD dst_unused:UNUSED_PAD src0_sel:DWORD src1_sel:WORD_1
	v_fma_f16 v1, v24, v8, v1
	v_cvt_f32_f16_e32 v1, v1
	v_mov_b32_e32 v5, v0
	v_lshrrev_b32_e32 v22, 16, v22
	v_lshlrev_b64 v[2:3], 2, v[2:3]
	v_cvt_f64_f32_e32 v[0:1], v1
	v_and_or_b32 v19, v22, s18, v19
	v_and_b32_e32 v20, 0xffff, v20
	v_lshl_or_b32 v19, v19, 16, v20
	v_mul_f64 v[0:1], v[0:1], s[14:15]
	v_mov_b32_e32 v20, s13
	v_add_co_u32_e32 v22, vcc, s12, v2
	v_addc_co_u32_e32 v20, vcc, v20, v3, vcc
	v_lshlrev_b64 v[2:3], 2, v[4:5]
	s_mul_hi_u32 s2, s8, 0x3cc
	v_add_co_u32_e32 v2, vcc, v22, v2
	v_addc_co_u32_e32 v3, vcc, v20, v3, vcc
	v_and_or_b32 v0, v1, s10, v0
	v_cmp_ne_u32_e32 vcc, 0, v0
	v_cndmask_b32_e64 v0, 0, 1, vcc
	v_lshrrev_b32_e32 v4, 8, v1
	v_bfe_u32 v5, v1, 20, 11
	global_store_dword v[2:3], v19, off
	v_and_or_b32 v0, v4, s16, v0
	v_sub_u32_e32 v19, 0x3f1, v5
	v_or_b32_e32 v4, 0x1000, v0
	v_med3_i32 v19, v19, 0, 13
	v_lshrrev_b32_e32 v20, v19, v4
	v_lshlrev_b32_e32 v19, v19, v20
	v_cmp_ne_u32_e32 vcc, v19, v4
	v_cndmask_b32_e64 v4, 0, 1, vcc
	v_or_b32_e32 v4, v20, v4
	v_mul_f16_sdwa v20, v24, v8 dst_sel:DWORD dst_unused:UNUSED_PAD src0_sel:DWORD src1_sel:WORD_1
	v_fma_f16 v8, v8, v21, -v20
	v_add_u32_e32 v19, 0xfffffc10, v5
	v_cvt_f32_f16_e32 v8, v8
	v_lshl_or_b32 v5, v19, 12, v0
	v_cmp_gt_i32_e32 vcc, 1, v19
	v_cndmask_b32_e32 v4, v5, v4, vcc
	v_and_b32_e32 v5, 7, v4
	v_cmp_lt_i32_e32 vcc, 5, v5
	v_cmp_eq_u32_e64 s[0:1], 3, v5
	v_lshrrev_b32_e32 v20, 2, v4
	v_cvt_f64_f32_e32 v[4:5], v8
	s_or_b64 vcc, s[0:1], vcc
	v_addc_co_u32_e32 v8, vcc, 0, v20, vcc
	v_mul_f64 v[4:5], v[4:5], s[14:15]
	v_cmp_gt_i32_e32 vcc, 31, v19
	v_cndmask_b32_e32 v8, v6, v8, vcc
	v_cmp_ne_u32_e32 vcc, 0, v0
	v_cndmask_b32_e64 v0, 0, 1, vcc
	v_lshl_or_b32 v0, v0, 9, v6
	v_cmp_eq_u32_e32 vcc, s17, v19
	v_cndmask_b32_e32 v0, v8, v0, vcc
	v_lshrrev_b32_e32 v1, 16, v1
	v_and_or_b32 v0, v1, s18, v0
	v_and_or_b32 v1, v5, s10, v4
	v_cmp_ne_u32_e32 vcc, 0, v1
	v_cndmask_b32_e64 v1, 0, 1, vcc
	v_lshrrev_b32_e32 v4, 8, v5
	v_bfe_u32 v8, v5, 20, 11
	v_and_or_b32 v1, v4, s16, v1
	v_sub_u32_e32 v19, 0x3f1, v8
	v_or_b32_e32 v4, 0x1000, v1
	v_med3_i32 v19, v19, 0, 13
	v_lshrrev_b32_e32 v20, v19, v4
	v_lshlrev_b32_e32 v19, v19, v20
	v_cmp_ne_u32_e32 vcc, v19, v4
	v_cndmask_b32_e64 v4, 0, 1, vcc
	v_add_u32_e32 v8, 0xfffffc10, v8
	v_or_b32_e32 v4, v20, v4
	v_lshl_or_b32 v19, v8, 12, v1
	v_cmp_gt_i32_e32 vcc, 1, v8
	v_cndmask_b32_e32 v4, v19, v4, vcc
	v_and_b32_e32 v19, 7, v4
	v_cmp_lt_i32_e32 vcc, 5, v19
	v_cmp_eq_u32_e64 s[0:1], 3, v19
	v_lshrrev_b32_e32 v4, 2, v4
	s_or_b64 vcc, s[0:1], vcc
	v_addc_co_u32_e32 v4, vcc, 0, v4, vcc
	v_cmp_gt_i32_e32 vcc, 31, v8
	v_cndmask_b32_e32 v4, v6, v4, vcc
	v_cmp_ne_u32_e32 vcc, 0, v1
	v_cndmask_b32_e64 v1, 0, 1, vcc
	v_lshl_or_b32 v1, v1, 9, v6
	v_cmp_eq_u32_e32 vcc, s17, v8
	v_cndmask_b32_e32 v1, v4, v1, vcc
	v_lshrrev_b32_e32 v4, 16, v5
	v_lshrrev_b32_e32 v5, 16, v25
	s_waitcnt vmcnt(2)
	v_mul_f16_sdwa v8, v5, v9 dst_sel:DWORD dst_unused:UNUSED_PAD src0_sel:DWORD src1_sel:WORD_1
	v_fma_f16 v8, v25, v9, v8
	v_cvt_f32_f16_e32 v8, v8
	v_and_or_b32 v1, v4, s18, v1
	v_and_b32_e32 v0, 0xffff, v0
	v_lshl_or_b32 v4, v1, 16, v0
	v_cvt_f64_f32_e32 v[0:1], v8
	s_mul_i32 s0, s9, 0x3cc
	s_add_i32 s2, s2, s0
	s_mul_i32 s3, s8, 0x3cc
	v_mul_f64 v[0:1], v[0:1], s[14:15]
	v_mov_b32_e32 v8, s2
	v_add_co_u32_e32 v2, vcc, s3, v2
	v_addc_co_u32_e32 v3, vcc, v3, v8, vcc
	global_store_dword v[2:3], v4, off
	global_load_dword v21, v58, s[6:7] offset:3888
	v_and_or_b32 v0, v1, s10, v0
	v_cmp_ne_u32_e32 vcc, 0, v0
	v_cndmask_b32_e64 v0, 0, 1, vcc
	v_lshrrev_b32_e32 v4, 8, v1
	v_bfe_u32 v8, v1, 20, 11
	v_and_or_b32 v0, v4, s16, v0
	v_sub_u32_e32 v19, 0x3f1, v8
	v_or_b32_e32 v4, 0x1000, v0
	v_med3_i32 v19, v19, 0, 13
	v_lshrrev_b32_e32 v20, v19, v4
	v_lshlrev_b32_e32 v19, v19, v20
	v_cmp_ne_u32_e32 vcc, v19, v4
	v_cndmask_b32_e64 v4, 0, 1, vcc
	v_or_b32_e32 v4, v20, v4
	v_mul_f16_sdwa v20, v25, v9 dst_sel:DWORD dst_unused:UNUSED_PAD src0_sel:DWORD src1_sel:WORD_1
	v_fma_f16 v5, v9, v5, -v20
	v_cvt_f32_f16_e32 v5, v5
	v_add_u32_e32 v8, 0xfffffc10, v8
	v_lshl_or_b32 v19, v8, 12, v0
	v_cmp_gt_i32_e32 vcc, 1, v8
	v_cndmask_b32_e32 v4, v19, v4, vcc
	v_and_b32_e32 v19, 7, v4
	v_lshrrev_b32_e32 v9, 2, v4
	v_cvt_f64_f32_e32 v[4:5], v5
	v_cmp_lt_i32_e32 vcc, 5, v19
	v_cmp_eq_u32_e64 s[0:1], 3, v19
	s_or_b64 vcc, s[0:1], vcc
	v_mul_f64 v[4:5], v[4:5], s[14:15]
	v_addc_co_u32_e32 v9, vcc, 0, v9, vcc
	v_cmp_gt_i32_e32 vcc, 31, v8
	v_cndmask_b32_e32 v9, v6, v9, vcc
	v_cmp_ne_u32_e32 vcc, 0, v0
	v_cndmask_b32_e64 v0, 0, 1, vcc
	v_lshl_or_b32 v0, v0, 9, v6
	v_cmp_eq_u32_e32 vcc, s17, v8
	v_cndmask_b32_e32 v0, v9, v0, vcc
	v_lshrrev_b32_e32 v1, 16, v1
	v_and_or_b32 v8, v1, s18, v0
	v_and_or_b32 v0, v5, s10, v4
	v_cmp_ne_u32_e32 vcc, 0, v0
	v_cndmask_b32_e64 v0, 0, 1, vcc
	v_lshrrev_b32_e32 v1, 8, v5
	v_bfe_u32 v4, v5, 20, 11
	v_and_or_b32 v0, v1, s16, v0
	v_sub_u32_e32 v9, 0x3f1, v4
	v_or_b32_e32 v1, 0x1000, v0
	v_med3_i32 v9, v9, 0, 13
	v_lshrrev_b32_e32 v19, v9, v1
	v_lshlrev_b32_e32 v9, v9, v19
	v_cmp_ne_u32_e32 vcc, v9, v1
	v_cndmask_b32_e64 v1, 0, 1, vcc
	v_add_u32_e32 v4, 0xfffffc10, v4
	v_or_b32_e32 v1, v19, v1
	v_lshl_or_b32 v9, v4, 12, v0
	v_cmp_gt_i32_e32 vcc, 1, v4
	v_cndmask_b32_e32 v1, v9, v1, vcc
	v_and_b32_e32 v9, 7, v1
	v_cmp_lt_i32_e32 vcc, 5, v9
	v_cmp_eq_u32_e64 s[0:1], 3, v9
	v_lshrrev_b32_e32 v9, 16, v12
	v_lshrrev_b32_e32 v1, 2, v1
	s_or_b64 vcc, s[0:1], vcc
	s_waitcnt vmcnt(3)
	v_mul_f16_sdwa v19, v9, v10 dst_sel:DWORD dst_unused:UNUSED_PAD src0_sel:DWORD src1_sel:WORD_1
	v_addc_co_u32_e32 v1, vcc, 0, v1, vcc
	v_fma_f16 v19, v12, v10, v19
	v_cmp_gt_i32_e32 vcc, 31, v4
	v_cvt_f32_f16_e32 v19, v19
	v_cndmask_b32_e32 v1, v6, v1, vcc
	v_cmp_ne_u32_e32 vcc, 0, v0
	v_cndmask_b32_e64 v0, 0, 1, vcc
	v_lshl_or_b32 v0, v0, 9, v6
	v_cmp_eq_u32_e32 vcc, s17, v4
	v_cndmask_b32_e32 v4, v1, v0, vcc
	v_cvt_f64_f32_e32 v[0:1], v19
	v_lshrrev_b32_e32 v5, 16, v5
	v_and_or_b32 v4, v5, s18, v4
	v_and_b32_e32 v5, 0xffff, v8
	v_mul_f64 v[0:1], v[0:1], s[14:15]
	v_lshl_or_b32 v4, v4, 16, v5
	v_mov_b32_e32 v5, s2
	v_add_co_u32_e32 v2, vcc, s3, v2
	v_addc_co_u32_e32 v3, vcc, v3, v5, vcc
	global_store_dword v[2:3], v4, off
	v_and_or_b32 v0, v1, s10, v0
	v_cmp_ne_u32_e32 vcc, 0, v0
	v_cndmask_b32_e64 v0, 0, 1, vcc
	v_lshrrev_b32_e32 v4, 8, v1
	v_bfe_u32 v5, v1, 20, 11
	v_and_or_b32 v0, v4, s16, v0
	v_sub_u32_e32 v8, 0x3f1, v5
	v_or_b32_e32 v4, 0x1000, v0
	v_med3_i32 v8, v8, 0, 13
	v_lshrrev_b32_e32 v19, v8, v4
	v_lshlrev_b32_e32 v8, v8, v19
	v_mul_f16_sdwa v12, v12, v10 dst_sel:DWORD dst_unused:UNUSED_PAD src0_sel:DWORD src1_sel:WORD_1
	v_cmp_ne_u32_e32 vcc, v8, v4
	v_fma_f16 v9, v10, v9, -v12
	v_cndmask_b32_e64 v4, 0, 1, vcc
	v_add_u32_e32 v8, 0xfffffc10, v5
	v_cvt_f32_f16_e32 v9, v9
	v_or_b32_e32 v4, v19, v4
	v_lshl_or_b32 v5, v8, 12, v0
	v_cmp_gt_i32_e32 vcc, 1, v8
	v_cndmask_b32_e32 v4, v5, v4, vcc
	v_and_b32_e32 v5, 7, v4
	v_cmp_lt_i32_e32 vcc, 5, v5
	v_cmp_eq_u32_e64 s[0:1], 3, v5
	v_lshrrev_b32_e32 v10, 2, v4
	v_cvt_f64_f32_e32 v[4:5], v9
	s_or_b64 vcc, s[0:1], vcc
	v_addc_co_u32_e32 v9, vcc, 0, v10, vcc
	v_mul_f64 v[4:5], v[4:5], s[14:15]
	v_cmp_gt_i32_e32 vcc, 31, v8
	v_cndmask_b32_e32 v9, v6, v9, vcc
	v_cmp_ne_u32_e32 vcc, 0, v0
	v_cndmask_b32_e64 v0, 0, 1, vcc
	v_lshl_or_b32 v0, v0, 9, v6
	v_cmp_eq_u32_e32 vcc, s17, v8
	v_cndmask_b32_e32 v0, v9, v0, vcc
	v_lshrrev_b32_e32 v1, 16, v1
	v_and_or_b32 v8, v1, s18, v0
	v_and_or_b32 v0, v5, s10, v4
	v_cmp_ne_u32_e32 vcc, 0, v0
	v_cndmask_b32_e64 v0, 0, 1, vcc
	v_lshrrev_b32_e32 v1, 8, v5
	v_bfe_u32 v4, v5, 20, 11
	v_and_or_b32 v0, v1, s16, v0
	v_sub_u32_e32 v9, 0x3f1, v4
	v_or_b32_e32 v1, 0x1000, v0
	v_med3_i32 v9, v9, 0, 13
	v_lshrrev_b32_e32 v10, v9, v1
	v_lshlrev_b32_e32 v9, v9, v10
	v_cmp_ne_u32_e32 vcc, v9, v1
	v_cndmask_b32_e64 v1, 0, 1, vcc
	v_add_u32_e32 v4, 0xfffffc10, v4
	v_or_b32_e32 v1, v10, v1
	v_lshl_or_b32 v9, v4, 12, v0
	v_cmp_gt_i32_e32 vcc, 1, v4
	v_cndmask_b32_e32 v1, v9, v1, vcc
	v_and_b32_e32 v9, 7, v1
	v_cmp_lt_i32_e32 vcc, 5, v9
	v_cmp_eq_u32_e64 s[0:1], 3, v9
	v_lshrrev_b32_e32 v10, 16, v18
	v_lshrrev_b32_e32 v1, 2, v1
	s_or_b64 vcc, s[0:1], vcc
	s_waitcnt vmcnt(1)
	v_mul_f16_sdwa v9, v10, v21 dst_sel:DWORD dst_unused:UNUSED_PAD src0_sel:DWORD src1_sel:WORD_1
	v_addc_co_u32_e32 v1, vcc, 0, v1, vcc
	v_fma_f16 v9, v18, v21, v9
	v_cmp_gt_i32_e32 vcc, 31, v4
	v_cvt_f32_f16_e32 v9, v9
	v_cndmask_b32_e32 v1, v6, v1, vcc
	v_cmp_ne_u32_e32 vcc, 0, v0
	v_cndmask_b32_e64 v0, 0, 1, vcc
	v_lshl_or_b32 v0, v0, 9, v6
	v_cmp_eq_u32_e32 vcc, s17, v4
	v_cndmask_b32_e32 v4, v1, v0, vcc
	v_cvt_f64_f32_e32 v[0:1], v9
	v_lshrrev_b32_e32 v5, 16, v5
	v_and_or_b32 v4, v5, s18, v4
	v_and_b32_e32 v5, 0xffff, v8
	v_mul_f64 v[0:1], v[0:1], s[14:15]
	v_lshl_or_b32 v4, v4, 16, v5
	v_mov_b32_e32 v5, s2
	v_add_co_u32_e32 v8, vcc, s3, v2
	v_addc_co_u32_e32 v9, vcc, v3, v5, vcc
	global_store_dword v[8:9], v4, off
	v_and_or_b32 v0, v1, s10, v0
	v_cmp_ne_u32_e32 vcc, 0, v0
	v_cndmask_b32_e64 v0, 0, 1, vcc
	v_add_co_u32_e32 v19, vcc, s19, v11
	v_addc_co_u32_e32 v20, vcc, 0, v7, vcc
	global_load_dword v12, v[19:20], off offset:764
	v_lshrrev_b32_e32 v2, 8, v1
	v_bfe_u32 v3, v1, 20, 11
	v_and_or_b32 v0, v2, s16, v0
	v_sub_u32_e32 v4, 0x3f1, v3
	v_or_b32_e32 v2, 0x1000, v0
	v_med3_i32 v4, v4, 0, 13
	v_lshrrev_b32_e32 v5, v4, v2
	v_lshlrev_b32_e32 v4, v4, v5
	v_cmp_ne_u32_e32 vcc, v4, v2
	v_cndmask_b32_e64 v2, 0, 1, vcc
	v_or_b32_e32 v2, v5, v2
	v_mul_f16_sdwa v5, v18, v21 dst_sel:DWORD dst_unused:UNUSED_PAD src0_sel:DWORD src1_sel:WORD_1
	v_fma_f16 v5, v21, v10, -v5
	v_add_u32_e32 v4, 0xfffffc10, v3
	v_cvt_f32_f16_e32 v5, v5
	v_lshl_or_b32 v3, v4, 12, v0
	v_cmp_gt_i32_e32 vcc, 1, v4
	v_cndmask_b32_e32 v2, v3, v2, vcc
	v_and_b32_e32 v3, 7, v2
	v_cmp_lt_i32_e32 vcc, 5, v3
	v_cmp_eq_u32_e64 s[0:1], 3, v3
	v_lshrrev_b32_e32 v10, 2, v2
	v_cvt_f64_f32_e32 v[2:3], v5
	s_or_b64 vcc, s[0:1], vcc
	v_addc_co_u32_e32 v5, vcc, 0, v10, vcc
	v_mul_f64 v[21:22], v[2:3], s[14:15]
	v_cmp_gt_i32_e32 vcc, 31, v4
	v_cndmask_b32_e32 v5, v6, v5, vcc
	v_cmp_ne_u32_e32 vcc, 0, v0
	v_cndmask_b32_e64 v0, 0, 1, vcc
	v_lshl_or_b32 v0, v0, 9, v6
	v_cmp_eq_u32_e32 vcc, s17, v4
	v_cndmask_b32_e32 v0, v5, v0, vcc
	v_lshrrev_b32_e32 v1, 16, v1
	v_and_or_b32 v10, v1, s18, v0
	v_and_or_b32 v0, v22, s10, v21
	v_cmp_ne_u32_e32 vcc, 0, v0
	v_cndmask_b32_e64 v0, 0, 1, vcc
	v_lshrrev_b32_e32 v1, 8, v22
	v_bfe_u32 v2, v22, 20, 11
	v_and_or_b32 v0, v1, s16, v0
	v_sub_u32_e32 v3, 0x3f1, v2
	v_or_b32_e32 v1, 0x1000, v0
	v_med3_i32 v3, v3, 0, 13
	v_lshrrev_b32_e32 v4, v3, v1
	v_lshlrev_b32_e32 v3, v3, v4
	v_cmp_ne_u32_e32 vcc, v3, v1
	v_cndmask_b32_e64 v1, 0, 1, vcc
	v_add_u32_e32 v18, 0xfffffc10, v2
	v_or_b32_e32 v1, v4, v1
	v_lshl_or_b32 v2, v18, 12, v0
	v_cmp_gt_i32_e32 vcc, 1, v18
	v_cndmask_b32_e32 v1, v2, v1, vcc
	v_and_b32_e32 v2, 7, v1
	v_cmp_lt_i32_e32 vcc, 5, v2
	v_cmp_eq_u32_e64 s[0:1], 3, v2
	v_lshrrev_b32_e32 v1, 2, v1
	s_or_b64 vcc, s[0:1], vcc
	v_addc_co_u32_e32 v1, vcc, 0, v1, vcc
	v_cmp_gt_i32_e32 vcc, 31, v18
	v_cndmask_b32_e32 v21, v6, v1, vcc
	v_cmp_ne_u32_e32 vcc, 0, v0
	s_movk_i32 s0, 0x2000
	v_add_u32_e32 v2, 0x12e0, v58
	v_cndmask_b32_e64 v25, 0, 1, vcc
	v_add_co_u32_e32 v0, vcc, s0, v11
	ds_read2_b32 v[23:24], v2 offset0:7 offset1:250
	v_addc_co_u32_e32 v1, vcc, 0, v7, vcc
	global_load_dword v27, v[19:20], off offset:1736
	global_load_dword v28, v[19:20], off offset:2708
	;; [unrolled: 1-line block ×6, first 2 shown]
	v_cmp_eq_u32_e32 vcc, s17, v18
	s_waitcnt lgkmcnt(0)
	v_lshrrev_b32_e32 v26, 16, v23
	v_lshl_or_b32 v20, v25, 9, v6
	v_cndmask_b32_e32 v20, v21, v20, vcc
	v_lshrrev_b32_e32 v21, 16, v22
	v_and_or_b32 v20, v21, s18, v20
	s_waitcnt vmcnt(6)
	v_mul_f16_sdwa v19, v26, v12 dst_sel:DWORD dst_unused:UNUSED_PAD src0_sel:DWORD src1_sel:WORD_1
	v_fma_f16 v19, v23, v12, v19
	v_cvt_f32_f16_e32 v19, v19
	v_and_b32_e32 v10, 0xffff, v10
	v_lshl_or_b32 v10, v20, 16, v10
	v_mov_b32_e32 v20, s2
	v_cvt_f64_f32_e32 v[18:19], v19
	v_add_co_u32_e32 v8, vcc, s3, v8
	v_addc_co_u32_e32 v9, vcc, v9, v20, vcc
	v_mul_f64 v[18:19], v[18:19], s[14:15]
	global_store_dword v[8:9], v10, off
	v_and_or_b32 v10, v19, s10, v18
	v_cmp_ne_u32_e32 vcc, 0, v10
	v_cndmask_b32_e64 v10, 0, 1, vcc
	v_lshrrev_b32_e32 v18, 8, v19
	v_bfe_u32 v20, v19, 20, 11
	v_and_or_b32 v10, v18, s16, v10
	v_sub_u32_e32 v21, 0x3f1, v20
	v_or_b32_e32 v18, 0x1000, v10
	v_med3_i32 v21, v21, 0, 13
	v_lshrrev_b32_e32 v22, v21, v18
	v_lshlrev_b32_e32 v21, v21, v22
	v_cmp_ne_u32_e32 vcc, v21, v18
	v_mul_f16_sdwa v21, v23, v12 dst_sel:DWORD dst_unused:UNUSED_PAD src0_sel:DWORD src1_sel:WORD_1
	v_cndmask_b32_e64 v18, 0, 1, vcc
	v_fma_f16 v12, v12, v26, -v21
	v_or_b32_e32 v18, v22, v18
	v_add_u32_e32 v22, 0xfffffc10, v20
	v_cvt_f32_f16_e32 v12, v12
	v_lshl_or_b32 v20, v22, 12, v10
	v_cmp_gt_i32_e32 vcc, 1, v22
	v_cndmask_b32_e32 v18, v20, v18, vcc
	v_and_b32_e32 v20, 7, v18
	v_cmp_lt_i32_e32 vcc, 5, v20
	v_cmp_eq_u32_e64 s[0:1], 3, v20
	v_cvt_f64_f32_e32 v[20:21], v12
	v_lshrrev_b32_e32 v18, 2, v18
	s_or_b64 vcc, s[0:1], vcc
	v_addc_co_u32_e32 v12, vcc, 0, v18, vcc
	v_mul_f64 v[20:21], v[20:21], s[14:15]
	v_cmp_gt_i32_e32 vcc, 31, v22
	v_cndmask_b32_e32 v12, v6, v12, vcc
	v_cmp_ne_u32_e32 vcc, 0, v10
	v_cndmask_b32_e64 v10, 0, 1, vcc
	v_lshl_or_b32 v10, v10, 9, v6
	v_cmp_eq_u32_e32 vcc, s17, v22
	v_cndmask_b32_e32 v10, v12, v10, vcc
	v_lshrrev_b32_e32 v12, 16, v19
	v_and_or_b32 v10, v12, s18, v10
	v_and_or_b32 v12, v21, s10, v20
	v_cmp_ne_u32_e32 vcc, 0, v12
	v_cndmask_b32_e64 v12, 0, 1, vcc
	v_lshrrev_b32_e32 v18, 8, v21
	v_bfe_u32 v19, v21, 20, 11
	v_and_or_b32 v12, v18, s16, v12
	v_sub_u32_e32 v20, 0x3f1, v19
	v_or_b32_e32 v18, 0x1000, v12
	v_med3_i32 v20, v20, 0, 13
	v_lshrrev_b32_e32 v22, v20, v18
	v_lshlrev_b32_e32 v20, v20, v22
	v_cmp_ne_u32_e32 vcc, v20, v18
	v_cndmask_b32_e64 v18, 0, 1, vcc
	v_add_u32_e32 v19, 0xfffffc10, v19
	v_or_b32_e32 v18, v22, v18
	v_lshl_or_b32 v20, v19, 12, v12
	v_cmp_gt_i32_e32 vcc, 1, v19
	v_cndmask_b32_e32 v18, v20, v18, vcc
	v_and_b32_e32 v20, 7, v18
	v_cmp_lt_i32_e32 vcc, 5, v20
	v_cmp_eq_u32_e64 s[0:1], 3, v20
	v_lshrrev_b32_e32 v20, 16, v24
	v_lshrrev_b32_e32 v18, 2, v18
	s_or_b64 vcc, s[0:1], vcc
	s_waitcnt vmcnt(6)
	v_mul_f16_sdwa v22, v20, v27 dst_sel:DWORD dst_unused:UNUSED_PAD src0_sel:DWORD src1_sel:WORD_1
	v_addc_co_u32_e32 v18, vcc, 0, v18, vcc
	v_fma_f16 v22, v24, v27, v22
	v_cmp_gt_i32_e32 vcc, 31, v19
	v_cvt_f32_f16_e32 v22, v22
	v_cndmask_b32_e32 v18, v6, v18, vcc
	v_cmp_ne_u32_e32 vcc, 0, v12
	v_cndmask_b32_e64 v12, 0, 1, vcc
	v_lshl_or_b32 v12, v12, 9, v6
	v_cmp_eq_u32_e32 vcc, s17, v19
	v_cndmask_b32_e32 v12, v18, v12, vcc
	v_cvt_f64_f32_e32 v[18:19], v22
	v_lshrrev_b32_e32 v21, 16, v21
	v_and_or_b32 v12, v21, s18, v12
	v_and_b32_e32 v10, 0xffff, v10
	v_mul_f64 v[18:19], v[18:19], s[14:15]
	v_lshl_or_b32 v10, v12, 16, v10
	v_mov_b32_e32 v12, s2
	v_add_co_u32_e32 v8, vcc, s3, v8
	v_addc_co_u32_e32 v9, vcc, v9, v12, vcc
	global_store_dword v[8:9], v10, off
	v_and_or_b32 v10, v19, s10, v18
	v_cmp_ne_u32_e32 vcc, 0, v10
	v_cndmask_b32_e64 v10, 0, 1, vcc
	v_lshrrev_b32_e32 v12, 8, v19
	v_bfe_u32 v18, v19, 20, 11
	v_and_or_b32 v10, v12, s16, v10
	v_sub_u32_e32 v21, 0x3f1, v18
	v_or_b32_e32 v12, 0x1000, v10
	v_med3_i32 v21, v21, 0, 13
	v_lshrrev_b32_e32 v22, v21, v12
	v_lshlrev_b32_e32 v21, v21, v22
	v_cmp_ne_u32_e32 vcc, v21, v12
	v_cndmask_b32_e64 v12, 0, 1, vcc
	v_or_b32_e32 v12, v22, v12
	v_mul_f16_sdwa v22, v24, v27 dst_sel:DWORD dst_unused:UNUSED_PAD src0_sel:DWORD src1_sel:WORD_1
	v_fma_f16 v20, v27, v20, -v22
	v_add_u32_e32 v18, 0xfffffc10, v18
	v_cvt_f32_f16_e32 v20, v20
	v_lshl_or_b32 v21, v18, 12, v10
	v_cmp_gt_i32_e32 vcc, 1, v18
	v_cndmask_b32_e32 v12, v21, v12, vcc
	v_and_b32_e32 v21, 7, v12
	v_cmp_lt_i32_e32 vcc, 5, v21
	v_cmp_eq_u32_e64 s[0:1], 3, v21
	v_cvt_f64_f32_e32 v[20:21], v20
	v_lshrrev_b32_e32 v12, 2, v12
	s_or_b64 vcc, s[0:1], vcc
	v_addc_co_u32_e32 v12, vcc, 0, v12, vcc
	v_mul_f64 v[20:21], v[20:21], s[14:15]
	v_cmp_gt_i32_e32 vcc, 31, v18
	v_cndmask_b32_e32 v12, v6, v12, vcc
	v_cmp_ne_u32_e32 vcc, 0, v10
	v_cndmask_b32_e64 v10, 0, 1, vcc
	v_lshl_or_b32 v10, v10, 9, v6
	v_cmp_eq_u32_e32 vcc, s17, v18
	v_cndmask_b32_e32 v10, v12, v10, vcc
	v_lshrrev_b32_e32 v12, 16, v19
	v_and_or_b32 v10, v12, s18, v10
	v_and_or_b32 v12, v21, s10, v20
	v_cmp_ne_u32_e32 vcc, 0, v12
	v_cndmask_b32_e64 v12, 0, 1, vcc
	v_lshrrev_b32_e32 v18, 8, v21
	v_bfe_u32 v19, v21, 20, 11
	v_and_or_b32 v12, v18, s16, v12
	v_sub_u32_e32 v20, 0x3f1, v19
	v_or_b32_e32 v18, 0x1000, v12
	v_med3_i32 v20, v20, 0, 13
	v_lshrrev_b32_e32 v22, v20, v18
	v_lshlrev_b32_e32 v20, v20, v22
	v_cmp_ne_u32_e32 vcc, v20, v18
	v_cndmask_b32_e64 v18, 0, 1, vcc
	v_add_u32_e32 v19, 0xfffffc10, v19
	v_or_b32_e32 v18, v22, v18
	v_lshl_or_b32 v20, v19, 12, v12
	v_cmp_gt_i32_e32 vcc, 1, v19
	v_cndmask_b32_e32 v18, v20, v18, vcc
	v_and_b32_e32 v20, 7, v18
	v_cmp_lt_i32_e32 vcc, 5, v20
	v_cmp_eq_u32_e64 s[0:1], 3, v20
	v_lshrrev_b32_e32 v20, 16, v13
	v_lshrrev_b32_e32 v18, 2, v18
	s_or_b64 vcc, s[0:1], vcc
	s_waitcnt vmcnt(6)
	v_mul_f16_sdwa v22, v20, v28 dst_sel:DWORD dst_unused:UNUSED_PAD src0_sel:DWORD src1_sel:WORD_1
	v_addc_co_u32_e32 v18, vcc, 0, v18, vcc
	v_fma_f16 v22, v13, v28, v22
	v_cmp_gt_i32_e32 vcc, 31, v19
	v_cvt_f32_f16_e32 v22, v22
	v_cndmask_b32_e32 v18, v6, v18, vcc
	v_cmp_ne_u32_e32 vcc, 0, v12
	v_cndmask_b32_e64 v12, 0, 1, vcc
	v_lshl_or_b32 v12, v12, 9, v6
	v_cmp_eq_u32_e32 vcc, s17, v19
	v_cndmask_b32_e32 v12, v18, v12, vcc
	v_cvt_f64_f32_e32 v[18:19], v22
	v_lshrrev_b32_e32 v21, 16, v21
	v_and_or_b32 v12, v21, s18, v12
	v_and_b32_e32 v10, 0xffff, v10
	v_mul_f64 v[18:19], v[18:19], s[14:15]
	v_lshl_or_b32 v10, v12, 16, v10
	v_mov_b32_e32 v12, s2
	v_add_co_u32_e32 v8, vcc, s3, v8
	v_addc_co_u32_e32 v9, vcc, v9, v12, vcc
	global_store_dword v[8:9], v10, off
	v_and_or_b32 v10, v19, s10, v18
	v_cmp_ne_u32_e32 vcc, 0, v10
	v_cndmask_b32_e64 v10, 0, 1, vcc
	v_lshrrev_b32_e32 v12, 8, v19
	v_bfe_u32 v18, v19, 20, 11
	v_and_or_b32 v10, v12, s16, v10
	v_sub_u32_e32 v21, 0x3f1, v18
	v_or_b32_e32 v12, 0x1000, v10
	v_med3_i32 v21, v21, 0, 13
	v_lshrrev_b32_e32 v22, v21, v12
	v_mul_f16_sdwa v13, v13, v28 dst_sel:DWORD dst_unused:UNUSED_PAD src0_sel:DWORD src1_sel:WORD_1
	v_lshlrev_b32_e32 v21, v21, v22
	v_fma_f16 v13, v28, v20, -v13
	v_cmp_ne_u32_e32 vcc, v21, v12
	v_cvt_f32_f16_e32 v13, v13
	v_cndmask_b32_e64 v12, 0, 1, vcc
	v_add_u32_e32 v18, 0xfffffc10, v18
	v_or_b32_e32 v12, v22, v12
	v_lshl_or_b32 v21, v18, 12, v10
	v_cmp_gt_i32_e32 vcc, 1, v18
	v_cndmask_b32_e32 v12, v21, v12, vcc
	v_and_b32_e32 v21, 7, v12
	v_lshrrev_b32_e32 v20, 2, v12
	v_cvt_f64_f32_e32 v[12:13], v13
	v_cmp_lt_i32_e32 vcc, 5, v21
	v_cmp_eq_u32_e64 s[0:1], 3, v21
	s_or_b64 vcc, s[0:1], vcc
	v_mul_f64 v[12:13], v[12:13], s[14:15]
	v_addc_co_u32_e32 v20, vcc, 0, v20, vcc
	v_cmp_gt_i32_e32 vcc, 31, v18
	v_cndmask_b32_e32 v20, v6, v20, vcc
	v_cmp_ne_u32_e32 vcc, 0, v10
	v_cndmask_b32_e64 v10, 0, 1, vcc
	v_lshl_or_b32 v10, v10, 9, v6
	v_cmp_eq_u32_e32 vcc, s17, v18
	v_and_or_b32 v12, v13, s10, v12
	v_cndmask_b32_e32 v10, v20, v10, vcc
	v_lshrrev_b32_e32 v18, 16, v19
	v_cmp_ne_u32_e32 vcc, 0, v12
	v_and_or_b32 v10, v18, s18, v10
	v_cndmask_b32_e64 v12, 0, 1, vcc
	v_lshrrev_b32_e32 v18, 8, v13
	v_bfe_u32 v19, v13, 20, 11
	v_and_or_b32 v12, v18, s16, v12
	v_sub_u32_e32 v20, 0x3f1, v19
	v_or_b32_e32 v18, 0x1000, v12
	v_med3_i32 v20, v20, 0, 13
	v_lshrrev_b32_e32 v21, v20, v18
	v_lshlrev_b32_e32 v20, v20, v21
	v_cmp_ne_u32_e32 vcc, v20, v18
	v_cndmask_b32_e64 v18, 0, 1, vcc
	v_add_u32_e32 v19, 0xfffffc10, v19
	v_or_b32_e32 v18, v21, v18
	v_lshl_or_b32 v20, v19, 12, v12
	v_cmp_gt_i32_e32 vcc, 1, v19
	v_cndmask_b32_e32 v18, v20, v18, vcc
	v_and_b32_e32 v20, 7, v18
	v_cmp_lt_i32_e32 vcc, 5, v20
	v_cmp_eq_u32_e64 s[0:1], 3, v20
	v_lshrrev_b32_e32 v20, 16, v17
	v_lshrrev_b32_e32 v18, 2, v18
	s_or_b64 vcc, s[0:1], vcc
	s_waitcnt vmcnt(6)
	v_mul_f16_sdwa v21, v20, v5 dst_sel:DWORD dst_unused:UNUSED_PAD src0_sel:DWORD src1_sel:WORD_1
	v_addc_co_u32_e32 v18, vcc, 0, v18, vcc
	v_fma_f16 v21, v17, v5, v21
	v_cmp_gt_i32_e32 vcc, 31, v19
	v_cvt_f32_f16_e32 v21, v21
	v_cndmask_b32_e32 v18, v6, v18, vcc
	v_cmp_ne_u32_e32 vcc, 0, v12
	v_cndmask_b32_e64 v12, 0, 1, vcc
	v_lshl_or_b32 v12, v12, 9, v6
	v_cmp_eq_u32_e32 vcc, s17, v19
	v_cndmask_b32_e32 v12, v18, v12, vcc
	v_cvt_f64_f32_e32 v[18:19], v21
	v_lshrrev_b32_e32 v13, 16, v13
	v_and_or_b32 v21, v13, s18, v12
	v_and_b32_e32 v10, 0xffff, v10
	v_mul_f64 v[12:13], v[18:19], s[14:15]
	v_mov_b32_e32 v18, s2
	v_add_co_u32_e32 v8, vcc, s3, v8
	v_lshl_or_b32 v10, v21, 16, v10
	v_addc_co_u32_e32 v9, vcc, v9, v18, vcc
	global_store_dword v[8:9], v10, off
	v_and_or_b32 v10, v13, s10, v12
	v_cmp_ne_u32_e32 vcc, 0, v10
	v_cndmask_b32_e64 v10, 0, 1, vcc
	v_lshrrev_b32_e32 v12, 8, v13
	v_bfe_u32 v18, v13, 20, 11
	v_and_or_b32 v10, v12, s16, v10
	v_sub_u32_e32 v19, 0x3f1, v18
	v_or_b32_e32 v12, 0x1000, v10
	v_med3_i32 v19, v19, 0, 13
	v_lshrrev_b32_e32 v21, v19, v12
	v_lshlrev_b32_e32 v19, v19, v21
	v_mul_f16_sdwa v17, v17, v5 dst_sel:DWORD dst_unused:UNUSED_PAD src0_sel:DWORD src1_sel:WORD_1
	v_cmp_ne_u32_e32 vcc, v19, v12
	v_fma_f16 v5, v5, v20, -v17
	v_cndmask_b32_e64 v12, 0, 1, vcc
	v_add_u32_e32 v19, 0xfffffc10, v18
	v_cvt_f32_f16_e32 v5, v5
	v_or_b32_e32 v12, v21, v12
	v_lshl_or_b32 v18, v19, 12, v10
	v_cmp_gt_i32_e32 vcc, 1, v19
	v_cndmask_b32_e32 v12, v18, v12, vcc
	v_and_b32_e32 v18, 7, v12
	v_cmp_lt_i32_e32 vcc, 5, v18
	v_cmp_eq_u32_e64 s[0:1], 3, v18
	v_cvt_f64_f32_e32 v[17:18], v5
	v_lshrrev_b32_e32 v12, 2, v12
	s_or_b64 vcc, s[0:1], vcc
	v_addc_co_u32_e32 v5, vcc, 0, v12, vcc
	v_mul_f64 v[17:18], v[17:18], s[14:15]
	v_cmp_gt_i32_e32 vcc, 31, v19
	v_cndmask_b32_e32 v5, v6, v5, vcc
	v_cmp_ne_u32_e32 vcc, 0, v10
	v_cndmask_b32_e64 v10, 0, 1, vcc
	v_lshl_or_b32 v10, v10, 9, v6
	v_cmp_eq_u32_e32 vcc, s17, v19
	v_cndmask_b32_e32 v5, v5, v10, vcc
	v_lshrrev_b32_e32 v10, 16, v13
	v_and_or_b32 v5, v10, s18, v5
	v_and_or_b32 v10, v18, s10, v17
	v_cmp_ne_u32_e32 vcc, 0, v10
	v_cndmask_b32_e64 v10, 0, 1, vcc
	v_lshrrev_b32_e32 v12, 8, v18
	v_bfe_u32 v13, v18, 20, 11
	v_and_or_b32 v10, v12, s16, v10
	v_sub_u32_e32 v17, 0x3f1, v13
	v_or_b32_e32 v12, 0x1000, v10
	v_med3_i32 v17, v17, 0, 13
	v_lshrrev_b32_e32 v19, v17, v12
	v_lshlrev_b32_e32 v17, v17, v19
	v_cmp_ne_u32_e32 vcc, v17, v12
	v_cndmask_b32_e64 v12, 0, 1, vcc
	v_add_u32_e32 v17, 0xfffffc10, v13
	v_or_b32_e32 v12, v19, v12
	v_lshl_or_b32 v13, v17, 12, v10
	v_cmp_gt_i32_e32 vcc, 1, v17
	v_cndmask_b32_e32 v12, v13, v12, vcc
	v_and_b32_e32 v13, 7, v12
	v_cmp_lt_i32_e32 vcc, 5, v13
	v_cmp_eq_u32_e64 s[0:1], 3, v13
	v_lshrrev_b32_e32 v12, 2, v12
	s_or_b64 vcc, s[0:1], vcc
	v_addc_co_u32_e32 v19, vcc, 0, v12, vcc
	v_add_u32_e32 v12, 0x2200, v58
	ds_read2_b32 v[12:13], v12 offset0:11 offset1:254
	v_cmp_gt_i32_e32 vcc, 31, v17
	v_cndmask_b32_e32 v19, v6, v19, vcc
	v_cmp_ne_u32_e32 vcc, 0, v10
	v_cndmask_b32_e64 v10, 0, 1, vcc
	s_waitcnt lgkmcnt(0)
	v_lshrrev_b32_e32 v21, 16, v12
	s_waitcnt vmcnt(6)
	v_mul_f16_sdwa v20, v21, v4 dst_sel:DWORD dst_unused:UNUSED_PAD src0_sel:DWORD src1_sel:WORD_1
	v_fma_f16 v20, v12, v4, v20
	v_cvt_f32_f16_e32 v20, v20
	v_lshl_or_b32 v10, v10, 9, v6
	v_cmp_eq_u32_e32 vcc, s17, v17
	v_cndmask_b32_e32 v10, v19, v10, vcc
	v_cvt_f64_f32_e32 v[19:20], v20
	v_lshrrev_b32_e32 v17, 16, v18
	v_and_or_b32 v10, v17, s18, v10
	v_and_b32_e32 v5, 0xffff, v5
	v_mul_f64 v[17:18], v[19:20], s[14:15]
	v_lshl_or_b32 v5, v10, 16, v5
	v_mov_b32_e32 v10, s2
	v_add_co_u32_e32 v8, vcc, s3, v8
	v_addc_co_u32_e32 v9, vcc, v9, v10, vcc
	global_store_dword v[8:9], v5, off
	v_and_or_b32 v5, v18, s10, v17
	v_cmp_ne_u32_e32 vcc, 0, v5
	v_cndmask_b32_e64 v5, 0, 1, vcc
	v_lshrrev_b32_e32 v10, 8, v18
	v_bfe_u32 v17, v18, 20, 11
	v_and_or_b32 v10, v10, s16, v5
	v_sub_u32_e32 v19, 0x3f1, v17
	v_or_b32_e32 v5, 0x1000, v10
	v_med3_i32 v19, v19, 0, 13
	v_lshrrev_b32_e32 v20, v19, v5
	v_mul_f16_sdwa v12, v12, v4 dst_sel:DWORD dst_unused:UNUSED_PAD src0_sel:DWORD src1_sel:WORD_1
	v_lshlrev_b32_e32 v19, v19, v20
	v_fma_f16 v4, v4, v21, -v12
	v_cmp_ne_u32_e32 vcc, v19, v5
	v_cvt_f32_f16_e32 v4, v4
	v_cndmask_b32_e64 v5, 0, 1, vcc
	v_add_u32_e32 v17, 0xfffffc10, v17
	v_or_b32_e32 v5, v20, v5
	v_lshl_or_b32 v19, v17, 12, v10
	v_cmp_gt_i32_e32 vcc, 1, v17
	v_cndmask_b32_e32 v5, v19, v5, vcc
	v_and_b32_e32 v19, 7, v5
	v_lshrrev_b32_e32 v12, 2, v5
	v_cvt_f64_f32_e32 v[4:5], v4
	v_cmp_lt_i32_e32 vcc, 5, v19
	v_cmp_eq_u32_e64 s[0:1], 3, v19
	s_or_b64 vcc, s[0:1], vcc
	v_mul_f64 v[4:5], v[4:5], s[14:15]
	v_addc_co_u32_e32 v12, vcc, 0, v12, vcc
	v_cmp_gt_i32_e32 vcc, 31, v17
	v_cndmask_b32_e32 v12, v6, v12, vcc
	v_cmp_ne_u32_e32 vcc, 0, v10
	v_cndmask_b32_e64 v10, 0, 1, vcc
	v_lshl_or_b32 v10, v10, 9, v6
	v_cmp_eq_u32_e32 vcc, s17, v17
	v_and_or_b32 v4, v5, s10, v4
	v_cndmask_b32_e32 v10, v12, v10, vcc
	v_lshrrev_b32_e32 v12, 16, v18
	v_cmp_ne_u32_e32 vcc, 0, v4
	v_and_or_b32 v10, v12, s18, v10
	v_cndmask_b32_e64 v4, 0, 1, vcc
	v_lshrrev_b32_e32 v12, 8, v5
	v_bfe_u32 v17, v5, 20, 11
	v_and_or_b32 v4, v12, s16, v4
	v_sub_u32_e32 v18, 0x3f1, v17
	v_or_b32_e32 v12, 0x1000, v4
	v_med3_i32 v18, v18, 0, 13
	v_lshrrev_b32_e32 v19, v18, v12
	v_lshlrev_b32_e32 v18, v18, v19
	v_cmp_ne_u32_e32 vcc, v18, v12
	v_cndmask_b32_e64 v12, 0, 1, vcc
	v_add_u32_e32 v17, 0xfffffc10, v17
	v_or_b32_e32 v12, v19, v12
	v_lshl_or_b32 v18, v17, 12, v4
	v_cmp_gt_i32_e32 vcc, 1, v17
	v_cndmask_b32_e32 v12, v18, v12, vcc
	v_and_b32_e32 v18, 7, v12
	v_lshrrev_b32_e32 v19, 16, v13
	v_cmp_lt_i32_e32 vcc, 5, v18
	v_cmp_eq_u32_e64 s[0:1], 3, v18
	s_waitcnt vmcnt(6)
	v_mul_f16_sdwa v18, v19, v3 dst_sel:DWORD dst_unused:UNUSED_PAD src0_sel:DWORD src1_sel:WORD_1
	v_fma_f16 v18, v13, v3, v18
	v_lshrrev_b32_e32 v12, 2, v12
	s_or_b64 vcc, s[0:1], vcc
	v_cvt_f32_f16_e32 v18, v18
	v_addc_co_u32_e32 v12, vcc, 0, v12, vcc
	v_cmp_gt_i32_e32 vcc, 31, v17
	v_cndmask_b32_e32 v12, v6, v12, vcc
	v_cmp_ne_u32_e32 vcc, 0, v4
	v_cndmask_b32_e64 v4, 0, 1, vcc
	v_cmp_eq_u32_e32 vcc, s17, v17
	v_cvt_f64_f32_e32 v[17:18], v18
	v_lshl_or_b32 v4, v4, 9, v6
	v_cndmask_b32_e32 v4, v12, v4, vcc
	v_lshrrev_b32_e32 v5, 16, v5
	v_and_or_b32 v12, v5, s18, v4
	v_mul_f64 v[4:5], v[17:18], s[14:15]
	v_and_b32_e32 v10, 0xffff, v10
	v_lshl_or_b32 v10, v12, 16, v10
	v_mov_b32_e32 v12, s2
	v_add_co_u32_e32 v8, vcc, s3, v8
	v_addc_co_u32_e32 v9, vcc, v9, v12, vcc
	v_and_or_b32 v4, v5, s10, v4
	v_cmp_ne_u32_e32 vcc, 0, v4
	global_store_dword v[8:9], v10, off
	v_cndmask_b32_e64 v4, 0, 1, vcc
	v_lshrrev_b32_e32 v10, 8, v5
	v_bfe_u32 v12, v5, 20, 11
	v_and_or_b32 v10, v10, s16, v4
	v_sub_u32_e32 v17, 0x3f1, v12
	v_or_b32_e32 v4, 0x1000, v10
	v_med3_i32 v17, v17, 0, 13
	v_lshrrev_b32_e32 v18, v17, v4
	v_mul_f16_sdwa v13, v13, v3 dst_sel:DWORD dst_unused:UNUSED_PAD src0_sel:DWORD src1_sel:WORD_1
	v_lshlrev_b32_e32 v17, v17, v18
	v_fma_f16 v3, v3, v19, -v13
	v_cmp_ne_u32_e32 vcc, v17, v4
	v_cvt_f32_f16_e32 v3, v3
	v_cndmask_b32_e64 v4, 0, 1, vcc
	v_add_u32_e32 v12, 0xfffffc10, v12
	v_or_b32_e32 v4, v18, v4
	v_lshl_or_b32 v17, v12, 12, v10
	v_cmp_gt_i32_e32 vcc, 1, v12
	v_cndmask_b32_e32 v4, v17, v4, vcc
	v_and_b32_e32 v17, 7, v4
	v_lshrrev_b32_e32 v13, 2, v4
	v_cvt_f64_f32_e32 v[3:4], v3
	v_cmp_lt_i32_e32 vcc, 5, v17
	v_cmp_eq_u32_e64 s[0:1], 3, v17
	s_or_b64 vcc, s[0:1], vcc
	v_mul_f64 v[3:4], v[3:4], s[14:15]
	v_addc_co_u32_e32 v13, vcc, 0, v13, vcc
	v_cmp_gt_i32_e32 vcc, 31, v12
	v_cndmask_b32_e32 v13, v6, v13, vcc
	v_cmp_ne_u32_e32 vcc, 0, v10
	v_cndmask_b32_e64 v10, 0, 1, vcc
	v_lshl_or_b32 v10, v10, 9, v6
	v_cmp_eq_u32_e32 vcc, s17, v12
	v_and_or_b32 v3, v4, s10, v3
	v_cndmask_b32_e32 v10, v13, v10, vcc
	v_lshrrev_b32_e32 v5, 16, v5
	v_cmp_ne_u32_e32 vcc, 0, v3
	v_and_or_b32 v5, v5, s18, v10
	v_cndmask_b32_e64 v3, 0, 1, vcc
	v_lshrrev_b32_e32 v10, 8, v4
	v_bfe_u32 v12, v4, 20, 11
	v_and_or_b32 v3, v10, s16, v3
	v_sub_u32_e32 v13, 0x3f1, v12
	v_or_b32_e32 v10, 0x1000, v3
	v_med3_i32 v13, v13, 0, 13
	v_lshrrev_b32_e32 v17, v13, v10
	v_lshlrev_b32_e32 v13, v13, v17
	v_cmp_ne_u32_e32 vcc, v13, v10
	v_cndmask_b32_e64 v10, 0, 1, vcc
	v_add_u32_e32 v12, 0xfffffc10, v12
	v_or_b32_e32 v10, v17, v10
	v_lshl_or_b32 v13, v12, 12, v3
	v_cmp_gt_i32_e32 vcc, 1, v12
	v_cndmask_b32_e32 v10, v13, v10, vcc
	v_and_b32_e32 v13, 7, v10
	v_lshrrev_b32_e32 v17, 16, v14
	v_cmp_lt_i32_e32 vcc, 5, v13
	v_cmp_eq_u32_e64 s[0:1], 3, v13
	s_waitcnt vmcnt(6)
	v_mul_f16_sdwa v13, v17, v2 dst_sel:DWORD dst_unused:UNUSED_PAD src0_sel:DWORD src1_sel:WORD_1
	v_fma_f16 v13, v14, v2, v13
	v_lshrrev_b32_e32 v10, 2, v10
	s_or_b64 vcc, s[0:1], vcc
	v_cvt_f32_f16_e32 v13, v13
	v_addc_co_u32_e32 v10, vcc, 0, v10, vcc
	v_cmp_gt_i32_e32 vcc, 31, v12
	v_cndmask_b32_e32 v10, v6, v10, vcc
	v_cmp_ne_u32_e32 vcc, 0, v3
	v_cndmask_b32_e64 v3, 0, 1, vcc
	v_cmp_eq_u32_e32 vcc, s17, v12
	v_cvt_f64_f32_e32 v[12:13], v13
	v_lshl_or_b32 v3, v3, 9, v6
	v_cndmask_b32_e32 v3, v10, v3, vcc
	v_lshrrev_b32_e32 v4, 16, v4
	v_and_or_b32 v10, v4, s18, v3
	v_mul_f64 v[3:4], v[12:13], s[14:15]
	v_and_b32_e32 v5, 0xffff, v5
	v_lshl_or_b32 v5, v10, 16, v5
	v_mov_b32_e32 v10, s2
	v_add_co_u32_e32 v8, vcc, s3, v8
	v_addc_co_u32_e32 v9, vcc, v9, v10, vcc
	v_and_or_b32 v3, v4, s10, v3
	v_cmp_ne_u32_e32 vcc, 0, v3
	global_store_dword v[8:9], v5, off
	v_cndmask_b32_e64 v3, 0, 1, vcc
	v_lshrrev_b32_e32 v5, 8, v4
	v_bfe_u32 v10, v4, 20, 11
	v_and_or_b32 v5, v5, s16, v3
	v_sub_u32_e32 v12, 0x3f1, v10
	v_or_b32_e32 v3, 0x1000, v5
	v_med3_i32 v12, v12, 0, 13
	v_lshrrev_b32_e32 v13, v12, v3
	v_lshlrev_b32_e32 v12, v12, v13
	v_cmp_ne_u32_e32 vcc, v12, v3
	v_cndmask_b32_e64 v3, 0, 1, vcc
	v_or_b32_e32 v3, v13, v3
	v_mul_f16_sdwa v13, v14, v2 dst_sel:DWORD dst_unused:UNUSED_PAD src0_sel:DWORD src1_sel:WORD_1
	v_fma_f16 v2, v2, v17, -v13
	v_add_u32_e32 v10, 0xfffffc10, v10
	v_cvt_f32_f16_e32 v2, v2
	v_lshl_or_b32 v12, v10, 12, v5
	v_cmp_gt_i32_e32 vcc, 1, v10
	v_cndmask_b32_e32 v3, v12, v3, vcc
	v_and_b32_e32 v12, 7, v3
	v_cmp_lt_i32_e32 vcc, 5, v12
	v_cmp_eq_u32_e64 s[0:1], 3, v12
	v_lshrrev_b32_e32 v12, 2, v3
	v_cvt_f64_f32_e32 v[2:3], v2
	s_or_b64 vcc, s[0:1], vcc
	v_addc_co_u32_e32 v12, vcc, 0, v12, vcc
	v_mul_f64 v[2:3], v[2:3], s[14:15]
	v_cmp_gt_i32_e32 vcc, 31, v10
	v_cndmask_b32_e32 v12, v6, v12, vcc
	v_cmp_ne_u32_e32 vcc, 0, v5
	v_cndmask_b32_e64 v5, 0, 1, vcc
	v_lshl_or_b32 v5, v5, 9, v6
	v_cmp_eq_u32_e32 vcc, s17, v10
	v_cndmask_b32_e32 v5, v12, v5, vcc
	v_and_or_b32 v2, v3, s10, v2
	v_lshrrev_b32_e32 v4, 16, v4
	v_cmp_ne_u32_e32 vcc, 0, v2
	v_and_or_b32 v4, v4, s18, v5
	v_cndmask_b32_e64 v2, 0, 1, vcc
	v_lshrrev_b32_e32 v5, 8, v3
	v_bfe_u32 v10, v3, 20, 11
	v_and_or_b32 v2, v5, s16, v2
	v_sub_u32_e32 v12, 0x3f1, v10
	v_or_b32_e32 v5, 0x1000, v2
	v_med3_i32 v12, v12, 0, 13
	v_lshrrev_b32_e32 v13, v12, v5
	v_lshlrev_b32_e32 v12, v12, v13
	v_cmp_ne_u32_e32 vcc, v12, v5
	v_cndmask_b32_e64 v5, 0, 1, vcc
	v_add_u32_e32 v10, 0xfffffc10, v10
	v_or_b32_e32 v5, v13, v5
	v_lshl_or_b32 v12, v10, 12, v2
	v_cmp_gt_i32_e32 vcc, 1, v10
	v_cndmask_b32_e32 v5, v12, v5, vcc
	v_and_b32_e32 v12, 7, v5
	v_cmp_lt_i32_e32 vcc, 5, v12
	v_cmp_eq_u32_e64 s[0:1], 3, v12
	v_lshrrev_b32_e32 v5, 2, v5
	s_or_b64 vcc, s[0:1], vcc
	v_addc_co_u32_e32 v5, vcc, 0, v5, vcc
	v_cmp_gt_i32_e32 vcc, 31, v10
	v_cndmask_b32_e32 v5, v6, v5, vcc
	v_cmp_ne_u32_e32 vcc, 0, v2
	v_cndmask_b32_e64 v2, 0, 1, vcc
	v_lshl_or_b32 v2, v2, 9, v6
	v_cmp_eq_u32_e32 vcc, s17, v10
	v_cndmask_b32_e32 v2, v5, v2, vcc
	v_lshrrev_b32_e32 v3, 16, v3
	v_and_or_b32 v2, v3, s18, v2
	v_and_b32_e32 v3, 0xffff, v4
	v_lshl_or_b32 v4, v2, 16, v3
	v_mov_b32_e32 v3, s2
	v_add_co_u32_e32 v2, vcc, s3, v8
	v_addc_co_u32_e32 v3, vcc, v9, v3, vcc
	global_store_dword v[2:3], v4, off
	global_load_dword v4, v[0:1], off offset:3472
	v_lshrrev_b32_e32 v5, 16, v16
	s_waitcnt vmcnt(0)
	v_mul_f16_sdwa v0, v5, v4 dst_sel:DWORD dst_unused:UNUSED_PAD src0_sel:DWORD src1_sel:WORD_1
	v_fma_f16 v0, v16, v4, v0
	v_cvt_f32_f16_e32 v0, v0
	v_cvt_f64_f32_e32 v[0:1], v0
	v_mul_f64 v[0:1], v[0:1], s[14:15]
	v_and_or_b32 v0, v1, s10, v0
	v_cmp_ne_u32_e32 vcc, 0, v0
	v_cndmask_b32_e64 v0, 0, 1, vcc
	v_lshrrev_b32_e32 v8, 8, v1
	v_bfe_u32 v9, v1, 20, 11
	v_and_or_b32 v0, v8, s16, v0
	v_sub_u32_e32 v10, 0x3f1, v9
	v_or_b32_e32 v8, 0x1000, v0
	v_med3_i32 v10, v10, 0, 13
	v_lshrrev_b32_e32 v12, v10, v8
	v_lshlrev_b32_e32 v10, v10, v12
	v_cmp_ne_u32_e32 vcc, v10, v8
	v_cndmask_b32_e64 v8, 0, 1, vcc
	v_or_b32_e32 v8, v12, v8
	v_mul_f16_sdwa v12, v16, v4 dst_sel:DWORD dst_unused:UNUSED_PAD src0_sel:DWORD src1_sel:WORD_1
	v_fma_f16 v4, v4, v5, -v12
	v_cvt_f32_f16_e32 v4, v4
	v_add_u32_e32 v9, 0xfffffc10, v9
	v_lshl_or_b32 v10, v9, 12, v0
	v_cmp_gt_i32_e32 vcc, 1, v9
	v_cvt_f64_f32_e32 v[4:5], v4
	v_cndmask_b32_e32 v8, v10, v8, vcc
	v_and_b32_e32 v10, 7, v8
	v_cmp_lt_i32_e32 vcc, 5, v10
	v_cmp_eq_u32_e64 s[0:1], 3, v10
	v_mul_f64 v[4:5], v[4:5], s[14:15]
	v_lshrrev_b32_e32 v8, 2, v8
	s_or_b64 vcc, s[0:1], vcc
	v_addc_co_u32_e32 v8, vcc, 0, v8, vcc
	v_cmp_gt_i32_e32 vcc, 31, v9
	v_cndmask_b32_e32 v8, v6, v8, vcc
	v_cmp_ne_u32_e32 vcc, 0, v0
	v_cndmask_b32_e64 v0, 0, 1, vcc
	v_lshl_or_b32 v0, v0, 9, v6
	v_cmp_eq_u32_e32 vcc, s17, v9
	v_cndmask_b32_e32 v0, v8, v0, vcc
	v_lshrrev_b32_e32 v1, 16, v1
	v_and_or_b32 v0, v1, s18, v0
	v_and_or_b32 v1, v5, s10, v4
	v_cmp_ne_u32_e32 vcc, 0, v1
	v_cndmask_b32_e64 v1, 0, 1, vcc
	v_lshrrev_b32_e32 v4, 8, v5
	v_bfe_u32 v8, v5, 20, 11
	v_and_or_b32 v1, v4, s16, v1
	v_sub_u32_e32 v9, 0x3f1, v8
	v_or_b32_e32 v4, 0x1000, v1
	v_med3_i32 v9, v9, 0, 13
	v_lshrrev_b32_e32 v10, v9, v4
	v_lshlrev_b32_e32 v9, v9, v10
	v_cmp_ne_u32_e32 vcc, v9, v4
	v_cndmask_b32_e64 v4, 0, 1, vcc
	v_add_u32_e32 v8, 0xfffffc10, v8
	v_or_b32_e32 v4, v10, v4
	v_lshl_or_b32 v9, v8, 12, v1
	v_cmp_gt_i32_e32 vcc, 1, v8
	v_cndmask_b32_e32 v4, v9, v4, vcc
	v_and_b32_e32 v9, 7, v4
	v_cmp_lt_i32_e32 vcc, 5, v9
	v_cmp_eq_u32_e64 s[0:1], 3, v9
	v_lshrrev_b32_e32 v4, 2, v4
	s_or_b64 vcc, s[0:1], vcc
	v_addc_co_u32_e32 v4, vcc, 0, v4, vcc
	v_cmp_gt_i32_e32 vcc, 31, v8
	v_cndmask_b32_e32 v4, v6, v4, vcc
	v_cmp_ne_u32_e32 vcc, 0, v1
	v_cndmask_b32_e64 v1, 0, 1, vcc
	v_lshl_or_b32 v1, v1, 9, v6
	v_cmp_eq_u32_e32 vcc, s17, v8
	v_cndmask_b32_e32 v1, v4, v1, vcc
	v_lshrrev_b32_e32 v4, 16, v5
	v_and_or_b32 v1, v4, s18, v1
	v_and_b32_e32 v0, 0xffff, v0
	v_lshl_or_b32 v4, v1, 16, v0
	v_mov_b32_e32 v1, s2
	v_add_co_u32_e32 v0, vcc, s3, v2
	v_addc_co_u32_e32 v1, vcc, v3, v1, vcc
	s_movk_i32 s0, 0x3000
	v_add_co_u32_e32 v2, vcc, s0, v11
	global_store_dword v[0:1], v4, off
	v_addc_co_u32_e32 v3, vcc, 0, v7, vcc
	global_load_dword v9, v[2:3], off offset:348
	v_add_u32_e32 v4, 0x3140, v58
	ds_read2_b32 v[4:5], v4 offset0:7 offset1:250
	s_waitcnt lgkmcnt(0)
	v_lshrrev_b32_e32 v10, 16, v4
	s_waitcnt vmcnt(0)
	v_mul_f16_sdwa v7, v10, v9 dst_sel:DWORD dst_unused:UNUSED_PAD src0_sel:DWORD src1_sel:WORD_1
	v_fma_f16 v7, v4, v9, v7
	v_cvt_f32_f16_e32 v7, v7
	v_mul_f16_sdwa v4, v4, v9 dst_sel:DWORD dst_unused:UNUSED_PAD src0_sel:DWORD src1_sel:WORD_1
	v_fma_f16 v4, v9, v10, -v4
	v_cvt_f32_f16_e32 v4, v4
	v_cvt_f64_f32_e32 v[7:8], v7
	v_cvt_f64_f32_e32 v[9:10], v4
	v_mul_f64 v[7:8], v[7:8], s[14:15]
	v_mul_f64 v[9:10], v[9:10], s[14:15]
	v_and_or_b32 v7, v8, s10, v7
	v_cmp_ne_u32_e32 vcc, 0, v7
	v_cndmask_b32_e64 v7, 0, 1, vcc
	v_lshrrev_b32_e32 v11, 8, v8
	v_bfe_u32 v12, v8, 20, 11
	v_and_or_b32 v7, v11, s16, v7
	v_sub_u32_e32 v13, 0x3f1, v12
	v_or_b32_e32 v11, 0x1000, v7
	v_med3_i32 v13, v13, 0, 13
	v_lshrrev_b32_e32 v14, v13, v11
	v_lshlrev_b32_e32 v13, v13, v14
	v_cmp_ne_u32_e32 vcc, v13, v11
	v_cndmask_b32_e64 v11, 0, 1, vcc
	v_add_u32_e32 v12, 0xfffffc10, v12
	v_or_b32_e32 v11, v14, v11
	v_lshl_or_b32 v13, v12, 12, v7
	v_cmp_gt_i32_e32 vcc, 1, v12
	v_cndmask_b32_e32 v11, v13, v11, vcc
	v_and_b32_e32 v13, 7, v11
	v_cmp_lt_i32_e32 vcc, 5, v13
	v_cmp_eq_u32_e64 s[0:1], 3, v13
	v_lshrrev_b32_e32 v11, 2, v11
	s_or_b64 vcc, s[0:1], vcc
	v_addc_co_u32_e32 v4, vcc, 0, v11, vcc
	v_cmp_gt_i32_e32 vcc, 31, v12
	v_cndmask_b32_e32 v4, v6, v4, vcc
	v_cmp_ne_u32_e32 vcc, 0, v7
	v_cndmask_b32_e64 v7, 0, 1, vcc
	v_lshl_or_b32 v7, v7, 9, v6
	v_cmp_eq_u32_e32 vcc, s17, v12
	v_cndmask_b32_e32 v4, v4, v7, vcc
	v_lshrrev_b32_e32 v7, 16, v8
	v_and_or_b32 v4, v7, s18, v4
	v_and_or_b32 v7, v10, s10, v9
	v_cmp_ne_u32_e32 vcc, 0, v7
	v_cndmask_b32_e64 v7, 0, 1, vcc
	v_lshrrev_b32_e32 v8, 8, v10
	v_bfe_u32 v9, v10, 20, 11
	v_and_or_b32 v7, v8, s16, v7
	v_sub_u32_e32 v11, 0x3f1, v9
	v_or_b32_e32 v8, 0x1000, v7
	v_med3_i32 v11, v11, 0, 13
	v_lshrrev_b32_e32 v12, v11, v8
	v_lshlrev_b32_e32 v11, v11, v12
	v_cmp_ne_u32_e32 vcc, v11, v8
	v_cndmask_b32_e64 v8, 0, 1, vcc
	v_add_u32_e32 v9, 0xfffffc10, v9
	v_or_b32_e32 v8, v12, v8
	v_lshl_or_b32 v11, v9, 12, v7
	v_cmp_gt_i32_e32 vcc, 1, v9
	v_cndmask_b32_e32 v8, v11, v8, vcc
	v_and_b32_e32 v11, 7, v8
	v_cmp_lt_i32_e32 vcc, 5, v11
	v_cmp_eq_u32_e64 s[0:1], 3, v11
	v_lshrrev_b32_e32 v8, 2, v8
	s_or_b64 vcc, s[0:1], vcc
	v_addc_co_u32_e32 v8, vcc, 0, v8, vcc
	v_cmp_gt_i32_e32 vcc, 31, v9
	v_cndmask_b32_e32 v8, v6, v8, vcc
	v_cmp_ne_u32_e32 vcc, 0, v7
	v_cndmask_b32_e64 v7, 0, 1, vcc
	v_lshl_or_b32 v7, v7, 9, v6
	v_cmp_eq_u32_e32 vcc, s17, v9
	v_cndmask_b32_e32 v7, v8, v7, vcc
	v_lshrrev_b32_e32 v8, 16, v10
	v_and_or_b32 v7, v8, s18, v7
	v_and_b32_e32 v4, 0xffff, v4
	v_lshl_or_b32 v4, v7, 16, v4
	v_mov_b32_e32 v7, s2
	v_add_co_u32_e32 v0, vcc, s3, v0
	v_addc_co_u32_e32 v1, vcc, v1, v7, vcc
	global_store_dword v[0:1], v4, off
	global_load_dword v4, v[2:3], off offset:1320
	v_lshrrev_b32_e32 v9, 16, v5
	s_waitcnt vmcnt(0)
	v_mul_f16_sdwa v7, v9, v4 dst_sel:DWORD dst_unused:UNUSED_PAD src0_sel:DWORD src1_sel:WORD_1
	v_fma_f16 v7, v5, v4, v7
	v_cvt_f32_f16_e32 v7, v7
	v_mul_f16_sdwa v5, v5, v4 dst_sel:DWORD dst_unused:UNUSED_PAD src0_sel:DWORD src1_sel:WORD_1
	v_fma_f16 v4, v4, v9, -v5
	v_cvt_f32_f16_e32 v4, v4
	v_cvt_f64_f32_e32 v[7:8], v7
	v_cvt_f64_f32_e32 v[4:5], v4
	v_mul_f64 v[7:8], v[7:8], s[14:15]
	v_mul_f64 v[4:5], v[4:5], s[14:15]
	v_and_or_b32 v7, v8, s10, v7
	v_cmp_ne_u32_e32 vcc, 0, v7
	v_cndmask_b32_e64 v7, 0, 1, vcc
	v_lshrrev_b32_e32 v10, 8, v8
	v_bfe_u32 v11, v8, 20, 11
	v_and_or_b32 v7, v10, s16, v7
	v_sub_u32_e32 v12, 0x3f1, v11
	v_or_b32_e32 v10, 0x1000, v7
	v_med3_i32 v12, v12, 0, 13
	v_lshrrev_b32_e32 v13, v12, v10
	v_lshlrev_b32_e32 v12, v12, v13
	v_cmp_ne_u32_e32 vcc, v12, v10
	v_cndmask_b32_e64 v10, 0, 1, vcc
	v_add_u32_e32 v11, 0xfffffc10, v11
	v_or_b32_e32 v10, v13, v10
	v_lshl_or_b32 v12, v11, 12, v7
	v_cmp_gt_i32_e32 vcc, 1, v11
	v_cndmask_b32_e32 v10, v12, v10, vcc
	v_and_b32_e32 v12, 7, v10
	v_cmp_lt_i32_e32 vcc, 5, v12
	v_cmp_eq_u32_e64 s[0:1], 3, v12
	v_lshrrev_b32_e32 v9, 2, v10
	s_or_b64 vcc, s[0:1], vcc
	v_addc_co_u32_e32 v9, vcc, 0, v9, vcc
	v_cmp_gt_i32_e32 vcc, 31, v11
	v_cndmask_b32_e32 v9, v6, v9, vcc
	v_cmp_ne_u32_e32 vcc, 0, v7
	v_cndmask_b32_e64 v7, 0, 1, vcc
	v_lshl_or_b32 v7, v7, 9, v6
	v_cmp_eq_u32_e32 vcc, s17, v11
	v_and_or_b32 v4, v5, s10, v4
	v_cndmask_b32_e32 v7, v9, v7, vcc
	v_lshrrev_b32_e32 v8, 16, v8
	v_cmp_ne_u32_e32 vcc, 0, v4
	v_and_or_b32 v7, v8, s18, v7
	v_cndmask_b32_e64 v4, 0, 1, vcc
	v_lshrrev_b32_e32 v8, 8, v5
	v_bfe_u32 v9, v5, 20, 11
	v_and_or_b32 v4, v8, s16, v4
	v_sub_u32_e32 v10, 0x3f1, v9
	v_or_b32_e32 v8, 0x1000, v4
	v_med3_i32 v10, v10, 0, 13
	v_lshrrev_b32_e32 v11, v10, v8
	v_lshlrev_b32_e32 v10, v10, v11
	v_cmp_ne_u32_e32 vcc, v10, v8
	v_cndmask_b32_e64 v8, 0, 1, vcc
	v_add_u32_e32 v9, 0xfffffc10, v9
	v_or_b32_e32 v8, v11, v8
	v_lshl_or_b32 v10, v9, 12, v4
	v_cmp_gt_i32_e32 vcc, 1, v9
	v_cndmask_b32_e32 v8, v10, v8, vcc
	v_and_b32_e32 v10, 7, v8
	v_cmp_lt_i32_e32 vcc, 5, v10
	v_cmp_eq_u32_e64 s[0:1], 3, v10
	v_lshrrev_b32_e32 v8, 2, v8
	s_or_b64 vcc, s[0:1], vcc
	v_addc_co_u32_e32 v8, vcc, 0, v8, vcc
	v_cmp_gt_i32_e32 vcc, 31, v9
	v_cndmask_b32_e32 v8, v6, v8, vcc
	v_cmp_ne_u32_e32 vcc, 0, v4
	v_cndmask_b32_e64 v4, 0, 1, vcc
	v_lshl_or_b32 v4, v4, 9, v6
	v_cmp_eq_u32_e32 vcc, s17, v9
	v_cndmask_b32_e32 v4, v8, v4, vcc
	v_lshrrev_b32_e32 v5, 16, v5
	v_and_or_b32 v4, v5, s18, v4
	v_and_b32_e32 v5, 0xffff, v7
	v_lshl_or_b32 v4, v4, 16, v5
	v_mov_b32_e32 v5, s2
	v_add_co_u32_e32 v0, vcc, s3, v0
	v_addc_co_u32_e32 v1, vcc, v1, v5, vcc
	global_store_dword v[0:1], v4, off
	global_load_dword v4, v[2:3], off offset:2292
	v_lshrrev_b32_e32 v5, 16, v15
	s_waitcnt vmcnt(0)
	v_mul_f16_sdwa v2, v5, v4 dst_sel:DWORD dst_unused:UNUSED_PAD src0_sel:DWORD src1_sel:WORD_1
	v_fma_f16 v2, v15, v4, v2
	v_cvt_f32_f16_e32 v2, v2
	v_cvt_f64_f32_e32 v[2:3], v2
	v_mul_f64 v[2:3], v[2:3], s[14:15]
	v_and_or_b32 v2, v3, s10, v2
	v_cmp_ne_u32_e32 vcc, 0, v2
	v_cndmask_b32_e64 v2, 0, 1, vcc
	v_lshrrev_b32_e32 v7, 8, v3
	v_bfe_u32 v8, v3, 20, 11
	v_and_or_b32 v2, v7, s16, v2
	v_sub_u32_e32 v9, 0x3f1, v8
	v_or_b32_e32 v7, 0x1000, v2
	v_med3_i32 v9, v9, 0, 13
	v_lshrrev_b32_e32 v10, v9, v7
	v_lshlrev_b32_e32 v9, v9, v10
	v_cmp_ne_u32_e32 vcc, v9, v7
	v_cndmask_b32_e64 v7, 0, 1, vcc
	v_or_b32_e32 v7, v10, v7
	v_mul_f16_sdwa v10, v15, v4 dst_sel:DWORD dst_unused:UNUSED_PAD src0_sel:DWORD src1_sel:WORD_1
	v_fma_f16 v4, v4, v5, -v10
	v_cvt_f32_f16_e32 v4, v4
	v_add_u32_e32 v8, 0xfffffc10, v8
	v_lshl_or_b32 v9, v8, 12, v2
	v_cmp_gt_i32_e32 vcc, 1, v8
	v_cvt_f64_f32_e32 v[4:5], v4
	v_cndmask_b32_e32 v7, v9, v7, vcc
	v_and_b32_e32 v9, 7, v7
	v_cmp_lt_i32_e32 vcc, 5, v9
	v_cmp_eq_u32_e64 s[0:1], 3, v9
	v_mul_f64 v[4:5], v[4:5], s[14:15]
	v_lshrrev_b32_e32 v7, 2, v7
	s_or_b64 vcc, s[0:1], vcc
	v_addc_co_u32_e32 v7, vcc, 0, v7, vcc
	v_cmp_gt_i32_e32 vcc, 31, v8
	v_cndmask_b32_e32 v7, v6, v7, vcc
	v_cmp_ne_u32_e32 vcc, 0, v2
	v_cndmask_b32_e64 v2, 0, 1, vcc
	v_lshl_or_b32 v2, v2, 9, v6
	v_cmp_eq_u32_e32 vcc, s17, v8
	v_cndmask_b32_e32 v2, v7, v2, vcc
	v_lshrrev_b32_e32 v3, 16, v3
	v_and_or_b32 v2, v3, s18, v2
	v_and_or_b32 v3, v5, s10, v4
	v_cmp_ne_u32_e32 vcc, 0, v3
	v_cndmask_b32_e64 v3, 0, 1, vcc
	v_lshrrev_b32_e32 v4, 8, v5
	v_bfe_u32 v7, v5, 20, 11
	v_and_or_b32 v3, v4, s16, v3
	v_sub_u32_e32 v8, 0x3f1, v7
	v_or_b32_e32 v4, 0x1000, v3
	v_med3_i32 v8, v8, 0, 13
	v_lshrrev_b32_e32 v9, v8, v4
	v_lshlrev_b32_e32 v8, v8, v9
	v_cmp_ne_u32_e32 vcc, v8, v4
	v_cndmask_b32_e64 v4, 0, 1, vcc
	v_add_u32_e32 v7, 0xfffffc10, v7
	v_or_b32_e32 v4, v9, v4
	v_lshl_or_b32 v8, v7, 12, v3
	v_cmp_gt_i32_e32 vcc, 1, v7
	v_cndmask_b32_e32 v4, v8, v4, vcc
	v_and_b32_e32 v8, 7, v4
	v_cmp_lt_i32_e32 vcc, 5, v8
	v_cmp_eq_u32_e64 s[0:1], 3, v8
	v_lshrrev_b32_e32 v4, 2, v4
	s_or_b64 vcc, s[0:1], vcc
	v_addc_co_u32_e32 v4, vcc, 0, v4, vcc
	v_cmp_gt_i32_e32 vcc, 31, v7
	v_cndmask_b32_e32 v4, v6, v4, vcc
	v_cmp_ne_u32_e32 vcc, 0, v3
	v_cndmask_b32_e64 v3, 0, 1, vcc
	v_lshl_or_b32 v3, v3, 9, v6
	v_cmp_eq_u32_e32 vcc, s17, v7
	v_cndmask_b32_e32 v3, v4, v3, vcc
	v_lshrrev_b32_e32 v4, 16, v5
	v_and_or_b32 v3, v4, s18, v3
	v_and_b32_e32 v2, 0xffff, v2
	v_lshl_or_b32 v2, v3, 16, v2
	v_mov_b32_e32 v3, s2
	v_add_co_u32_e32 v0, vcc, s3, v0
	v_addc_co_u32_e32 v1, vcc, v1, v3, vcc
	global_store_dword v[0:1], v2, off
.LBB0_15:
	s_endpgm
	.section	.rodata,"a",@progbits
	.p2align	6, 0x0
	.amdhsa_kernel bluestein_single_back_len3888_dim1_half_op_CI_CI
		.amdhsa_group_segment_fixed_size 15552
		.amdhsa_private_segment_fixed_size 0
		.amdhsa_kernarg_size 104
		.amdhsa_user_sgpr_count 6
		.amdhsa_user_sgpr_private_segment_buffer 1
		.amdhsa_user_sgpr_dispatch_ptr 0
		.amdhsa_user_sgpr_queue_ptr 0
		.amdhsa_user_sgpr_kernarg_segment_ptr 1
		.amdhsa_user_sgpr_dispatch_id 0
		.amdhsa_user_sgpr_flat_scratch_init 0
		.amdhsa_user_sgpr_private_segment_size 0
		.amdhsa_uses_dynamic_stack 0
		.amdhsa_system_sgpr_private_segment_wavefront_offset 0
		.amdhsa_system_sgpr_workgroup_id_x 1
		.amdhsa_system_sgpr_workgroup_id_y 0
		.amdhsa_system_sgpr_workgroup_id_z 0
		.amdhsa_system_sgpr_workgroup_info 0
		.amdhsa_system_vgpr_workitem_id 0
		.amdhsa_next_free_vgpr 120
		.amdhsa_next_free_sgpr 20
		.amdhsa_reserve_vcc 1
		.amdhsa_reserve_flat_scratch 0
		.amdhsa_float_round_mode_32 0
		.amdhsa_float_round_mode_16_64 0
		.amdhsa_float_denorm_mode_32 3
		.amdhsa_float_denorm_mode_16_64 3
		.amdhsa_dx10_clamp 1
		.amdhsa_ieee_mode 1
		.amdhsa_fp16_overflow 0
		.amdhsa_exception_fp_ieee_invalid_op 0
		.amdhsa_exception_fp_denorm_src 0
		.amdhsa_exception_fp_ieee_div_zero 0
		.amdhsa_exception_fp_ieee_overflow 0
		.amdhsa_exception_fp_ieee_underflow 0
		.amdhsa_exception_fp_ieee_inexact 0
		.amdhsa_exception_int_div_zero 0
	.end_amdhsa_kernel
	.text
.Lfunc_end0:
	.size	bluestein_single_back_len3888_dim1_half_op_CI_CI, .Lfunc_end0-bluestein_single_back_len3888_dim1_half_op_CI_CI
                                        ; -- End function
	.section	.AMDGPU.csdata,"",@progbits
; Kernel info:
; codeLenInByte = 24184
; NumSgprs: 24
; NumVgprs: 120
; ScratchSize: 0
; MemoryBound: 0
; FloatMode: 240
; IeeeMode: 1
; LDSByteSize: 15552 bytes/workgroup (compile time only)
; SGPRBlocks: 2
; VGPRBlocks: 29
; NumSGPRsForWavesPerEU: 24
; NumVGPRsForWavesPerEU: 120
; Occupancy: 2
; WaveLimiterHint : 1
; COMPUTE_PGM_RSRC2:SCRATCH_EN: 0
; COMPUTE_PGM_RSRC2:USER_SGPR: 6
; COMPUTE_PGM_RSRC2:TRAP_HANDLER: 0
; COMPUTE_PGM_RSRC2:TGID_X_EN: 1
; COMPUTE_PGM_RSRC2:TGID_Y_EN: 0
; COMPUTE_PGM_RSRC2:TGID_Z_EN: 0
; COMPUTE_PGM_RSRC2:TIDIG_COMP_CNT: 0
	.type	__hip_cuid_8600c81bfa7083a2,@object ; @__hip_cuid_8600c81bfa7083a2
	.section	.bss,"aw",@nobits
	.globl	__hip_cuid_8600c81bfa7083a2
__hip_cuid_8600c81bfa7083a2:
	.byte	0                               ; 0x0
	.size	__hip_cuid_8600c81bfa7083a2, 1

	.ident	"AMD clang version 19.0.0git (https://github.com/RadeonOpenCompute/llvm-project roc-6.4.0 25133 c7fe45cf4b819c5991fe208aaa96edf142730f1d)"
	.section	".note.GNU-stack","",@progbits
	.addrsig
	.addrsig_sym __hip_cuid_8600c81bfa7083a2
	.amdgpu_metadata
---
amdhsa.kernels:
  - .args:
      - .actual_access:  read_only
        .address_space:  global
        .offset:         0
        .size:           8
        .value_kind:     global_buffer
      - .actual_access:  read_only
        .address_space:  global
        .offset:         8
        .size:           8
        .value_kind:     global_buffer
      - .actual_access:  read_only
        .address_space:  global
        .offset:         16
        .size:           8
        .value_kind:     global_buffer
      - .actual_access:  read_only
        .address_space:  global
        .offset:         24
        .size:           8
        .value_kind:     global_buffer
      - .actual_access:  read_only
        .address_space:  global
        .offset:         32
        .size:           8
        .value_kind:     global_buffer
      - .offset:         40
        .size:           8
        .value_kind:     by_value
      - .address_space:  global
        .offset:         48
        .size:           8
        .value_kind:     global_buffer
      - .address_space:  global
        .offset:         56
        .size:           8
        .value_kind:     global_buffer
      - .address_space:  global
        .offset:         64
        .size:           8
        .value_kind:     global_buffer
      - .address_space:  global
        .offset:         72
        .size:           8
        .value_kind:     global_buffer
      - .offset:         80
        .size:           4
        .value_kind:     by_value
      - .address_space:  global
        .offset:         88
        .size:           8
        .value_kind:     global_buffer
      - .address_space:  global
        .offset:         96
        .size:           8
        .value_kind:     global_buffer
    .group_segment_fixed_size: 15552
    .kernarg_segment_align: 8
    .kernarg_segment_size: 104
    .language:       OpenCL C
    .language_version:
      - 2
      - 0
    .max_flat_workgroup_size: 324
    .name:           bluestein_single_back_len3888_dim1_half_op_CI_CI
    .private_segment_fixed_size: 0
    .sgpr_count:     24
    .sgpr_spill_count: 0
    .symbol:         bluestein_single_back_len3888_dim1_half_op_CI_CI.kd
    .uniform_work_group_size: 1
    .uses_dynamic_stack: false
    .vgpr_count:     120
    .vgpr_spill_count: 0
    .wavefront_size: 64
amdhsa.target:   amdgcn-amd-amdhsa--gfx906
amdhsa.version:
  - 1
  - 2
...

	.end_amdgpu_metadata
